;; amdgpu-corpus repo=ROCm/rocSPARSE kind=compiled arch=gfx950 opt=O3
	.amdgcn_target "amdgcn-amd-amdhsa--gfx950"
	.amdhsa_code_object_version 6
	.section	.text._ZN9rocsparseL17csrilu0_binsearchILj256ELj64ELb1EfEEviPKiS2_PT2_S2_PiS2_S5_S5_d21rocsparse_index_base_imNS_24const_host_device_scalarIfEENS7_IdEENS7_IS3_EEb,"axG",@progbits,_ZN9rocsparseL17csrilu0_binsearchILj256ELj64ELb1EfEEviPKiS2_PT2_S2_PiS2_S5_S5_d21rocsparse_index_base_imNS_24const_host_device_scalarIfEENS7_IdEENS7_IS3_EEb,comdat
	.globl	_ZN9rocsparseL17csrilu0_binsearchILj256ELj64ELb1EfEEviPKiS2_PT2_S2_PiS2_S5_S5_d21rocsparse_index_base_imNS_24const_host_device_scalarIfEENS7_IdEENS7_IS3_EEb ; -- Begin function _ZN9rocsparseL17csrilu0_binsearchILj256ELj64ELb1EfEEviPKiS2_PT2_S2_PiS2_S5_S5_d21rocsparse_index_base_imNS_24const_host_device_scalarIfEENS7_IdEENS7_IS3_EEb
	.p2align	8
	.type	_ZN9rocsparseL17csrilu0_binsearchILj256ELj64ELb1EfEEviPKiS2_PT2_S2_PiS2_S5_S5_d21rocsparse_index_base_imNS_24const_host_device_scalarIfEENS7_IdEENS7_IS3_EEb,@function
_ZN9rocsparseL17csrilu0_binsearchILj256ELj64ELb1EfEEviPKiS2_PT2_S2_PiS2_S5_S5_d21rocsparse_index_base_imNS_24const_host_device_scalarIfEENS7_IdEENS7_IS3_EEb: ; @_ZN9rocsparseL17csrilu0_binsearchILj256ELj64ELb1EfEEviPKiS2_PT2_S2_PiS2_S5_S5_d21rocsparse_index_base_imNS_24const_host_device_scalarIfEENS7_IdEENS7_IS3_EEb
; %bb.0:
	s_load_dword s3, s[0:1], 0x78
	s_load_dwordx2 s[28:29], s[0:1], 0x50
	s_load_dwordx8 s[20:27], s[0:1], 0x58
	s_waitcnt lgkmcnt(0)
	s_bitcmp1_b32 s3, 0
	s_cselect_b64 s[4:5], -1, 0
	s_cmp_eq_u32 s29, 0
	s_cselect_b64 s[6:7], -1, 0
	s_cmp_lg_u32 s29, 0
	s_cselect_b64 s[30:31], -1, 0
	s_or_b64 s[4:5], s[6:7], s[4:5]
	s_xor_b64 s[8:9], s[4:5], -1
	s_and_b64 s[10:11], s[6:7], exec
	s_cselect_b32 s11, 0, s25
	s_cselect_b32 s10, 0, s24
	s_and_b64 vcc, exec, s[4:5]
	s_cbranch_vccnz .LBB0_2
; %bb.1:
	s_load_dword s3, s[22:23], 0x0
	s_mov_b64 s[10:11], s[24:25]
	s_waitcnt lgkmcnt(0)
	v_mov_b32_e32 v15, s3
	s_branch .LBB0_3
.LBB0_2:
	v_mov_b32_e32 v1, s22
	v_cndmask_b32_e64 v15, v1, 0, s[6:7]
.LBB0_3:
	v_cndmask_b32_e64 v1, 0, 1, s[8:9]
	v_cmp_ne_u32_e64 s[4:5], 1, v1
	s_andn2_b64 vcc, exec, s[8:9]
	v_mov_b64_e32 v[4:5], s[10:11]
	s_cbranch_vccnz .LBB0_5
; %bb.4:
	v_mov_b64_e32 v[2:3], s[24:25]
	flat_load_dwordx2 v[4:5], v[2:3]
.LBB0_5:
	s_and_b64 vcc, exec, s[4:5]
	s_cbranch_vccnz .LBB0_7
; %bb.6:
	s_load_dword s3, s[26:27], 0x0
	s_waitcnt lgkmcnt(0)
	v_mov_b32_e32 v16, s3
	s_branch .LBB0_8
.LBB0_7:
	v_mov_b32_e32 v1, s26
	v_cndmask_b32_e64 v16, v1, 0, s[6:7]
.LBB0_8:
	s_load_dword s3, s[0:1], 0x0
	s_lshl_b32 s2, s2, 2
	v_lshrrev_b32_e32 v1, 6, v0
	s_and_b32 s2, s2, 0x3fffffc
	v_or_b32_e32 v1, s2, v1
	s_waitcnt lgkmcnt(0)
	v_cmp_gt_i32_e32 vcc, s3, v1
	s_and_saveexec_b64 s[2:3], vcc
	s_cbranch_execz .LBB0_46
; %bb.9:
	s_load_dwordx16 s[4:19], s[0:1], 0x8
	v_lshlrev_b32_e32 v1, 2, v1
	v_and_b32_e32 v14, 63, v0
	s_waitcnt lgkmcnt(0)
	global_load_dword v2, v1, s[14:15]
	s_waitcnt vmcnt(0)
	v_ashrrev_i32_e32 v3, 31, v2
	v_lshlrev_b64 v[6:7], 2, v[2:3]
	v_lshl_add_u64 v[8:9], s[4:5], 0, v[6:7]
	v_lshl_add_u64 v[10:11], s[10:11], 0, v[6:7]
	global_load_dword v1, v[8:9], off
	global_load_dword v6, v[10:11], off
	s_waitcnt vmcnt(1)
	v_subrev_u32_e32 v0, s28, v1
	s_waitcnt vmcnt(0)
	v_cmp_lt_i32_e32 vcc, v0, v6
	s_and_saveexec_b64 s[2:3], vcc
	s_cbranch_execz .LBB0_28
; %bb.10:
	global_load_dword v1, v[8:9], off offset:4
	v_add_u32_e32 v7, 1, v14
	s_mov_b64 s[14:15], 0
	s_waitcnt vmcnt(0)
	v_xad_u32 v17, s28, -1, v1
	s_branch .LBB0_13
.LBB0_11:                               ;   in Loop: Header=BB0_13 Depth=1
	s_or_b64 exec, exec, s[24:25]
	v_cmp_ge_i32_e32 vcc, v0, v6
	s_orn2_b64 s[24:25], vcc, exec
.LBB0_12:                               ;   in Loop: Header=BB0_13 Depth=1
	s_or_b64 exec, exec, s[22:23]
	s_and_b64 s[22:23], exec, s[24:25]
	s_or_b64 s[14:15], s[22:23], s[14:15]
	s_andn2_b64 exec, exec, s[14:15]
	s_cbranch_execz .LBB0_28
.LBB0_13:                               ; =>This Loop Header: Depth=1
                                        ;     Child Loop BB0_16 Depth 2
                                        ;       Child Loop BB0_17 Depth 3
                                        ;     Child Loop BB0_22 Depth 2
                                        ;       Child Loop BB0_24 Depth 3
	v_ashrrev_i32_e32 v1, 31, v0
	v_lshlrev_b64 v[8:9], 2, v[0:1]
	v_lshl_add_u64 v[10:11], s[6:7], 0, v[8:9]
	global_load_dword v1, v[10:11], off
	v_lshl_add_u64 v[8:9], s[8:9], 0, v[8:9]
	global_load_dword v12, v[8:9], off
	s_waitcnt vmcnt(1)
	v_subrev_u32_e32 v10, s28, v1
	v_ashrrev_i32_e32 v11, 31, v10
	v_lshlrev_b64 v[10:11], 2, v[10:11]
	v_lshl_add_u64 v[18:19], s[4:5], 0, v[10:11]
	v_lshl_add_u64 v[20:21], s[10:11], 0, v[10:11]
	;; [unrolled: 1-line block ×3, first 2 shown]
	global_load_dword v1, v[18:19], off offset:4
	global_load_dword v13, v[20:21], off
	global_load_dword v22, v[10:11], off sc1
	s_waitcnt vmcnt(0)
	v_cmp_eq_u32_e32 vcc, 0, v22
	s_and_saveexec_b64 s[22:23], vcc
	s_cbranch_execz .LBB0_18
; %bb.14:                               ;   in Loop: Header=BB0_13 Depth=1
	s_mov_b32 s26, 0
	s_mov_b64 s[24:25], 0
	s_branch .LBB0_16
.LBB0_15:                               ;   in Loop: Header=BB0_16 Depth=2
	global_load_dword v18, v[10:11], off sc1
	s_cmpk_lt_u32 s26, 0xf43
	s_cselect_b64 s[34:35], -1, 0
	s_cmp_lg_u64 s[34:35], 0
	s_addc_u32 s26, s26, 0
	s_waitcnt vmcnt(0)
	v_cmp_ne_u32_e32 vcc, 0, v18
	s_or_b64 s[24:25], vcc, s[24:25]
	s_andn2_b64 exec, exec, s[24:25]
	s_cbranch_execz .LBB0_18
.LBB0_16:                               ;   Parent Loop BB0_13 Depth=1
                                        ; =>  This Loop Header: Depth=2
                                        ;       Child Loop BB0_17 Depth 3
	s_cmp_eq_u32 s26, 0
	s_mov_b32 s27, s26
	s_cbranch_scc1 .LBB0_15
.LBB0_17:                               ;   Parent Loop BB0_13 Depth=1
                                        ;     Parent Loop BB0_16 Depth=2
                                        ; =>    This Inner Loop Header: Depth=3
	s_add_i32 s27, s27, -1
	s_cmp_eq_u32 s27, 0
	s_sleep 1
	s_cbranch_scc0 .LBB0_17
	s_branch .LBB0_15
.LBB0_18:                               ;   in Loop: Header=BB0_13 Depth=1
	s_or_b64 exec, exec, s[22:23]
	v_subrev_u32_e32 v1, s28, v1
	v_add_u32_e32 v10, -1, v1
	v_cmp_eq_u32_e32 vcc, -1, v13
	buffer_inv sc1
	s_mov_b64 s[24:25], -1
	v_cndmask_b32_e32 v10, v13, v10, vcc
	v_ashrrev_i32_e32 v11, 31, v10
	v_lshl_add_u64 v[18:19], v[10:11], 2, s[8:9]
	global_load_dword v11, v[18:19], off
	s_waitcnt vmcnt(0)
	v_cmp_neq_f32_e32 vcc, 0, v11
	s_and_saveexec_b64 s[22:23], vcc
	s_xor_b64 s[22:23], exec, s[22:23]
	s_cbranch_execz .LBB0_12
; %bb.19:                               ;   in Loop: Header=BB0_13 Depth=1
	v_div_scale_f32 v13, s[24:25], v11, v11, v12
	v_rcp_f32_e32 v18, v13
	v_div_scale_f32 v19, vcc, v12, v11, v12
	v_add_u32_e32 v0, 1, v0
	v_fma_f32 v20, -v13, v18, 1.0
	v_fmac_f32_e32 v18, v20, v18
	v_mul_f32_e32 v20, v19, v18
	v_fma_f32 v21, -v13, v20, v19
	v_fmac_f32_e32 v20, v21, v18
	v_fma_f32 v13, -v13, v20, v19
	v_div_fmas_f32 v13, v13, v18, v20
	v_div_fixup_f32 v18, v13, v11, v12
	global_store_dword v[8:9], v18, off
	v_add_u32_e32 v8, v7, v10
	v_cmp_lt_i32_e32 vcc, v8, v1
	s_and_saveexec_b64 s[24:25], vcc
	s_cbranch_execz .LBB0_11
; %bb.20:                               ;   in Loop: Header=BB0_13 Depth=1
	s_mov_b64 s[26:27], 0
	v_mov_b32_e32 v10, v0
	s_branch .LBB0_22
.LBB0_21:                               ;   in Loop: Header=BB0_22 Depth=2
	s_or_b64 exec, exec, s[34:35]
	v_add_u32_e32 v8, 64, v8
	v_cmp_ge_i32_e32 vcc, v8, v1
	s_or_b64 s[26:27], vcc, s[26:27]
	s_andn2_b64 exec, exec, s[26:27]
	s_cbranch_execz .LBB0_11
.LBB0_22:                               ;   Parent Loop BB0_13 Depth=1
                                        ; =>  This Loop Header: Depth=2
                                        ;       Child Loop BB0_24 Depth 3
	v_add_u32_e32 v11, v10, v17
	v_ashrrev_i32_e32 v9, 31, v8
	v_ashrrev_i32_e32 v12, 1, v11
	v_lshl_add_u64 v[20:21], v[8:9], 2, s[6:7]
	v_ashrrev_i32_e32 v13, 31, v12
	v_lshl_add_u64 v[22:23], v[12:13], 2, s[6:7]
	global_load_dword v11, v[20:21], off
	global_load_dword v13, v[22:23], off
	v_cmp_lt_i32_e32 vcc, v10, v17
	s_and_saveexec_b64 s[34:35], vcc
	s_cbranch_execz .LBB0_26
; %bb.23:                               ;   in Loop: Header=BB0_22 Depth=2
	s_mov_b64 s[36:37], 0
	v_mov_b32_e32 v19, v17
.LBB0_24:                               ;   Parent Loop BB0_13 Depth=1
                                        ;     Parent Loop BB0_22 Depth=2
                                        ; =>    This Inner Loop Header: Depth=3
	v_add_u32_e32 v20, 1, v12
	s_waitcnt vmcnt(0)
	v_cmp_lt_i32_e32 vcc, v13, v11
	s_nop 1
	v_cndmask_b32_e32 v19, v12, v19, vcc
	v_cndmask_b32_e32 v10, v10, v20, vcc
	v_add_u32_e32 v12, v19, v10
	v_ashrrev_i32_e32 v12, 1, v12
	v_ashrrev_i32_e32 v13, 31, v12
	v_lshl_add_u64 v[20:21], v[12:13], 2, s[6:7]
	global_load_dword v13, v[20:21], off
	v_cmp_ge_i32_e32 vcc, v10, v19
	s_or_b64 s[36:37], vcc, s[36:37]
	s_andn2_b64 exec, exec, s[36:37]
	s_cbranch_execnz .LBB0_24
; %bb.25:                               ;   in Loop: Header=BB0_22 Depth=2
	s_or_b64 exec, exec, s[36:37]
.LBB0_26:                               ;   in Loop: Header=BB0_22 Depth=2
	s_or_b64 exec, exec, s[34:35]
	s_waitcnt vmcnt(0)
	v_cmp_eq_u32_e32 vcc, v13, v11
	s_and_saveexec_b64 s[34:35], vcc
	s_cbranch_execz .LBB0_21
; %bb.27:                               ;   in Loop: Header=BB0_22 Depth=2
	v_lshl_add_u64 v[12:13], v[8:9], 2, s[8:9]
	v_ashrrev_i32_e32 v11, 31, v10
	v_lshl_add_u64 v[20:21], v[10:11], 2, s[8:9]
	global_load_dword v9, v[12:13], off
	global_load_dword v11, v[20:21], off
	s_waitcnt vmcnt(0)
	v_fma_f32 v9, -v18, v9, v11
	global_store_dword v[20:21], v9, off
	s_branch .LBB0_21
.LBB0_28:
	s_or_b64 exec, exec, s[2:3]
	v_cmp_lt_i32_e32 vcc, -1, v6
	s_and_saveexec_b64 s[6:7], vcc
	s_cbranch_execz .LBB0_44
; %bb.29:
	v_mov_b32_e32 v7, 0
	v_lshl_add_u64 v[6:7], v[6:7], 2, s[8:9]
	global_load_dword v8, v[6:7], off
	v_cmp_eq_u32_e64 s[2:3], 0, v14
	s_andn2_b64 vcc, exec, s[30:31]
	s_waitcnt vmcnt(0)
	v_cmp_gt_f32_e64 s[4:5], 0, v8
	s_nop 1
	v_cndmask_b32_e64 v0, v8, -v8, s[4:5]
	v_cvt_f64_f32_e32 v[0:1], v0
	s_mov_b64 s[4:5], -1
	s_cbranch_vccnz .LBB0_33
; %bb.30:
	s_cmp_eq_u64 s[20:21], 8
	v_cvt_f64_f32_e32 v[10:11], v15
	s_cselect_b64 vcc, -1, 0
	v_cndmask_b32_e32 v5, v11, v5, vcc
	v_cndmask_b32_e32 v4, v10, v4, vcc
	v_cmp_ge_f64_e32 vcc, v[4:5], v[0:1]
	s_and_b64 s[8:9], s[2:3], vcc
	s_and_saveexec_b64 s[4:5], s[8:9]
	s_cbranch_execz .LBB0_32
; %bb.31:
	global_store_dword v[6:7], v16, off
.LBB0_32:
	s_or_b64 exec, exec, s[4:5]
	s_mov_b64 s[4:5], 0
.LBB0_33:
	s_andn2_b64 vcc, exec, s[4:5]
	s_cbranch_vccnz .LBB0_44
; %bb.34:
	s_load_dwordx2 s[0:1], s[0:1], 0x48
	s_waitcnt lgkmcnt(0)
	v_cmp_ge_f64_e32 vcc, s[0:1], v[0:1]
	s_and_b64 s[4:5], s[2:3], vcc
	v_add_u32_e32 v0, s28, v2
	s_and_saveexec_b64 s[0:1], s[4:5]
	s_cbranch_execz .LBB0_39
; %bb.35:
	s_mov_b64 s[4:5], exec
	s_brev_b32 s8, -2
.LBB0_36:                               ; =>This Inner Loop Header: Depth=1
	s_ff1_i32_b64 s9, s[4:5]
	v_readlane_b32 s14, v0, s9
	s_lshl_b64 s[10:11], 1, s9
	s_min_i32 s8, s8, s14
	s_andn2_b64 s[4:5], s[4:5], s[10:11]
	s_cmp_lg_u64 s[4:5], 0
	s_cbranch_scc1 .LBB0_36
; %bb.37:
	v_mbcnt_lo_u32_b32 v1, exec_lo, 0
	v_mbcnt_hi_u32_b32 v1, exec_hi, v1
	v_cmp_eq_u32_e32 vcc, 0, v1
	s_and_saveexec_b64 s[4:5], vcc
	s_xor_b64 s[4:5], exec, s[4:5]
	s_cbranch_execz .LBB0_39
; %bb.38:
	v_mov_b32_e32 v1, 0
	v_mov_b32_e32 v4, s8
	global_atomic_smin v1, v4, s[18:19]
.LBB0_39:
	s_or_b64 exec, exec, s[0:1]
	v_cmp_eq_f32_e32 vcc, 0, v8
	s_and_b64 s[0:1], s[2:3], vcc
	s_and_b64 exec, exec, s[0:1]
	s_cbranch_execz .LBB0_44
; %bb.40:
	s_mov_b64 s[0:1], exec
	s_brev_b32 s2, -2
.LBB0_41:                               ; =>This Inner Loop Header: Depth=1
	s_ff1_i32_b64 s3, s[0:1]
	v_readlane_b32 s8, v0, s3
	s_lshl_b64 s[4:5], 1, s3
	s_min_i32 s2, s2, s8
	s_andn2_b64 s[0:1], s[0:1], s[4:5]
	s_cmp_lg_u64 s[0:1], 0
	s_cbranch_scc1 .LBB0_41
; %bb.42:
	v_mbcnt_lo_u32_b32 v0, exec_lo, 0
	v_mbcnt_hi_u32_b32 v0, exec_hi, v0
	v_cmp_eq_u32_e32 vcc, 0, v0
	s_and_saveexec_b64 s[0:1], vcc
	s_xor_b64 s[0:1], exec, s[0:1]
	s_cbranch_execz .LBB0_44
; %bb.43:
	v_mov_b32_e32 v0, 0
	v_mov_b32_e32 v1, s2
	global_atomic_smin v0, v1, s[16:17]
.LBB0_44:
	s_or_b64 exec, exec, s[6:7]
	v_cmp_eq_u32_e32 vcc, 0, v14
	buffer_wbl2 sc1
	s_waitcnt vmcnt(0)
	buffer_inv sc1
	s_and_b64 exec, exec, vcc
	s_cbranch_execz .LBB0_46
; %bb.45:
	v_lshl_add_u64 v[0:1], v[2:3], 2, s[12:13]
	v_mov_b32_e32 v2, 1
	buffer_wbl2 sc1
	global_store_dword v[0:1], v2, off sc1
.LBB0_46:
	s_endpgm
	.section	.rodata,"a",@progbits
	.p2align	6, 0x0
	.amdhsa_kernel _ZN9rocsparseL17csrilu0_binsearchILj256ELj64ELb1EfEEviPKiS2_PT2_S2_PiS2_S5_S5_d21rocsparse_index_base_imNS_24const_host_device_scalarIfEENS7_IdEENS7_IS3_EEb
		.amdhsa_group_segment_fixed_size 0
		.amdhsa_private_segment_fixed_size 0
		.amdhsa_kernarg_size 124
		.amdhsa_user_sgpr_count 2
		.amdhsa_user_sgpr_dispatch_ptr 0
		.amdhsa_user_sgpr_queue_ptr 0
		.amdhsa_user_sgpr_kernarg_segment_ptr 1
		.amdhsa_user_sgpr_dispatch_id 0
		.amdhsa_user_sgpr_kernarg_preload_length 0
		.amdhsa_user_sgpr_kernarg_preload_offset 0
		.amdhsa_user_sgpr_private_segment_size 0
		.amdhsa_uses_dynamic_stack 0
		.amdhsa_enable_private_segment 0
		.amdhsa_system_sgpr_workgroup_id_x 1
		.amdhsa_system_sgpr_workgroup_id_y 0
		.amdhsa_system_sgpr_workgroup_id_z 0
		.amdhsa_system_sgpr_workgroup_info 0
		.amdhsa_system_vgpr_workitem_id 0
		.amdhsa_next_free_vgpr 24
		.amdhsa_next_free_sgpr 38
		.amdhsa_accum_offset 24
		.amdhsa_reserve_vcc 1
		.amdhsa_float_round_mode_32 0
		.amdhsa_float_round_mode_16_64 0
		.amdhsa_float_denorm_mode_32 3
		.amdhsa_float_denorm_mode_16_64 3
		.amdhsa_dx10_clamp 1
		.amdhsa_ieee_mode 1
		.amdhsa_fp16_overflow 0
		.amdhsa_tg_split 0
		.amdhsa_exception_fp_ieee_invalid_op 0
		.amdhsa_exception_fp_denorm_src 0
		.amdhsa_exception_fp_ieee_div_zero 0
		.amdhsa_exception_fp_ieee_overflow 0
		.amdhsa_exception_fp_ieee_underflow 0
		.amdhsa_exception_fp_ieee_inexact 0
		.amdhsa_exception_int_div_zero 0
	.end_amdhsa_kernel
	.section	.text._ZN9rocsparseL17csrilu0_binsearchILj256ELj64ELb1EfEEviPKiS2_PT2_S2_PiS2_S5_S5_d21rocsparse_index_base_imNS_24const_host_device_scalarIfEENS7_IdEENS7_IS3_EEb,"axG",@progbits,_ZN9rocsparseL17csrilu0_binsearchILj256ELj64ELb1EfEEviPKiS2_PT2_S2_PiS2_S5_S5_d21rocsparse_index_base_imNS_24const_host_device_scalarIfEENS7_IdEENS7_IS3_EEb,comdat
.Lfunc_end0:
	.size	_ZN9rocsparseL17csrilu0_binsearchILj256ELj64ELb1EfEEviPKiS2_PT2_S2_PiS2_S5_S5_d21rocsparse_index_base_imNS_24const_host_device_scalarIfEENS7_IdEENS7_IS3_EEb, .Lfunc_end0-_ZN9rocsparseL17csrilu0_binsearchILj256ELj64ELb1EfEEviPKiS2_PT2_S2_PiS2_S5_S5_d21rocsparse_index_base_imNS_24const_host_device_scalarIfEENS7_IdEENS7_IS3_EEb
                                        ; -- End function
	.set _ZN9rocsparseL17csrilu0_binsearchILj256ELj64ELb1EfEEviPKiS2_PT2_S2_PiS2_S5_S5_d21rocsparse_index_base_imNS_24const_host_device_scalarIfEENS7_IdEENS7_IS3_EEb.num_vgpr, 24
	.set _ZN9rocsparseL17csrilu0_binsearchILj256ELj64ELb1EfEEviPKiS2_PT2_S2_PiS2_S5_S5_d21rocsparse_index_base_imNS_24const_host_device_scalarIfEENS7_IdEENS7_IS3_EEb.num_agpr, 0
	.set _ZN9rocsparseL17csrilu0_binsearchILj256ELj64ELb1EfEEviPKiS2_PT2_S2_PiS2_S5_S5_d21rocsparse_index_base_imNS_24const_host_device_scalarIfEENS7_IdEENS7_IS3_EEb.numbered_sgpr, 38
	.set _ZN9rocsparseL17csrilu0_binsearchILj256ELj64ELb1EfEEviPKiS2_PT2_S2_PiS2_S5_S5_d21rocsparse_index_base_imNS_24const_host_device_scalarIfEENS7_IdEENS7_IS3_EEb.num_named_barrier, 0
	.set _ZN9rocsparseL17csrilu0_binsearchILj256ELj64ELb1EfEEviPKiS2_PT2_S2_PiS2_S5_S5_d21rocsparse_index_base_imNS_24const_host_device_scalarIfEENS7_IdEENS7_IS3_EEb.private_seg_size, 0
	.set _ZN9rocsparseL17csrilu0_binsearchILj256ELj64ELb1EfEEviPKiS2_PT2_S2_PiS2_S5_S5_d21rocsparse_index_base_imNS_24const_host_device_scalarIfEENS7_IdEENS7_IS3_EEb.uses_vcc, 1
	.set _ZN9rocsparseL17csrilu0_binsearchILj256ELj64ELb1EfEEviPKiS2_PT2_S2_PiS2_S5_S5_d21rocsparse_index_base_imNS_24const_host_device_scalarIfEENS7_IdEENS7_IS3_EEb.uses_flat_scratch, 0
	.set _ZN9rocsparseL17csrilu0_binsearchILj256ELj64ELb1EfEEviPKiS2_PT2_S2_PiS2_S5_S5_d21rocsparse_index_base_imNS_24const_host_device_scalarIfEENS7_IdEENS7_IS3_EEb.has_dyn_sized_stack, 0
	.set _ZN9rocsparseL17csrilu0_binsearchILj256ELj64ELb1EfEEviPKiS2_PT2_S2_PiS2_S5_S5_d21rocsparse_index_base_imNS_24const_host_device_scalarIfEENS7_IdEENS7_IS3_EEb.has_recursion, 0
	.set _ZN9rocsparseL17csrilu0_binsearchILj256ELj64ELb1EfEEviPKiS2_PT2_S2_PiS2_S5_S5_d21rocsparse_index_base_imNS_24const_host_device_scalarIfEENS7_IdEENS7_IS3_EEb.has_indirect_call, 0
	.section	.AMDGPU.csdata,"",@progbits
; Kernel info:
; codeLenInByte = 1488
; TotalNumSgprs: 44
; NumVgprs: 24
; NumAgprs: 0
; TotalNumVgprs: 24
; ScratchSize: 0
; MemoryBound: 0
; FloatMode: 240
; IeeeMode: 1
; LDSByteSize: 0 bytes/workgroup (compile time only)
; SGPRBlocks: 5
; VGPRBlocks: 2
; NumSGPRsForWavesPerEU: 44
; NumVGPRsForWavesPerEU: 24
; AccumOffset: 24
; Occupancy: 8
; WaveLimiterHint : 1
; COMPUTE_PGM_RSRC2:SCRATCH_EN: 0
; COMPUTE_PGM_RSRC2:USER_SGPR: 2
; COMPUTE_PGM_RSRC2:TRAP_HANDLER: 0
; COMPUTE_PGM_RSRC2:TGID_X_EN: 1
; COMPUTE_PGM_RSRC2:TGID_Y_EN: 0
; COMPUTE_PGM_RSRC2:TGID_Z_EN: 0
; COMPUTE_PGM_RSRC2:TIDIG_COMP_CNT: 0
; COMPUTE_PGM_RSRC3_GFX90A:ACCUM_OFFSET: 5
; COMPUTE_PGM_RSRC3_GFX90A:TG_SPLIT: 0
	.section	.text._ZN9rocsparseL12csrilu0_hashILj256ELj32ELj1EfEEviPKiS2_PT2_S2_PiS2_S5_S5_d21rocsparse_index_base_imNS_24const_host_device_scalarIfEENS7_IdEENS7_IS3_EEb,"axG",@progbits,_ZN9rocsparseL12csrilu0_hashILj256ELj32ELj1EfEEviPKiS2_PT2_S2_PiS2_S5_S5_d21rocsparse_index_base_imNS_24const_host_device_scalarIfEENS7_IdEENS7_IS3_EEb,comdat
	.globl	_ZN9rocsparseL12csrilu0_hashILj256ELj32ELj1EfEEviPKiS2_PT2_S2_PiS2_S5_S5_d21rocsparse_index_base_imNS_24const_host_device_scalarIfEENS7_IdEENS7_IS3_EEb ; -- Begin function _ZN9rocsparseL12csrilu0_hashILj256ELj32ELj1EfEEviPKiS2_PT2_S2_PiS2_S5_S5_d21rocsparse_index_base_imNS_24const_host_device_scalarIfEENS7_IdEENS7_IS3_EEb
	.p2align	8
	.type	_ZN9rocsparseL12csrilu0_hashILj256ELj32ELj1EfEEviPKiS2_PT2_S2_PiS2_S5_S5_d21rocsparse_index_base_imNS_24const_host_device_scalarIfEENS7_IdEENS7_IS3_EEb,@function
_ZN9rocsparseL12csrilu0_hashILj256ELj32ELj1EfEEviPKiS2_PT2_S2_PiS2_S5_S5_d21rocsparse_index_base_imNS_24const_host_device_scalarIfEENS7_IdEENS7_IS3_EEb: ; @_ZN9rocsparseL12csrilu0_hashILj256ELj32ELj1EfEEviPKiS2_PT2_S2_PiS2_S5_S5_d21rocsparse_index_base_imNS_24const_host_device_scalarIfEENS7_IdEENS7_IS3_EEb
; %bb.0:
	s_load_dword s3, s[0:1], 0x78
	s_load_dwordx2 s[28:29], s[0:1], 0x50
	s_load_dwordx8 s[20:27], s[0:1], 0x58
	s_waitcnt lgkmcnt(0)
	s_bitcmp1_b32 s3, 0
	s_cselect_b64 s[4:5], -1, 0
	s_cmp_eq_u32 s29, 0
	s_cselect_b64 s[6:7], -1, 0
	s_cmp_lg_u32 s29, 0
	s_cselect_b64 s[30:31], -1, 0
	s_or_b64 s[4:5], s[6:7], s[4:5]
	s_xor_b64 s[8:9], s[4:5], -1
	s_and_b64 s[10:11], s[6:7], exec
	s_cselect_b32 s11, 0, s25
	s_cselect_b32 s10, 0, s24
	s_and_b64 vcc, exec, s[4:5]
	s_cbranch_vccnz .LBB1_2
; %bb.1:
	s_load_dword s3, s[22:23], 0x0
	s_mov_b64 s[10:11], s[24:25]
	s_waitcnt lgkmcnt(0)
	v_mov_b32_e32 v13, s3
	s_branch .LBB1_3
.LBB1_2:
	v_mov_b32_e32 v1, s22
	v_cndmask_b32_e64 v13, v1, 0, s[6:7]
.LBB1_3:
	v_cndmask_b32_e64 v1, 0, 1, s[8:9]
	v_cmp_ne_u32_e64 s[4:5], 1, v1
	s_andn2_b64 vcc, exec, s[8:9]
	v_mov_b64_e32 v[2:3], s[10:11]
	s_cbranch_vccnz .LBB1_5
; %bb.4:
	v_mov_b64_e32 v[2:3], s[24:25]
	flat_load_dwordx2 v[2:3], v[2:3]
.LBB1_5:
	s_and_b64 vcc, exec, s[4:5]
	s_cbranch_vccnz .LBB1_7
; %bb.6:
	s_load_dword s3, s[26:27], 0x0
	s_waitcnt lgkmcnt(0)
	v_mov_b32_e32 v14, s3
	s_branch .LBB1_8
.LBB1_7:
	v_mov_b32_e32 v1, s26
	v_cndmask_b32_e64 v14, v1, 0, s[6:7]
.LBB1_8:
	s_load_dword s3, s[0:1], 0x0
	s_lshl_b32 s2, s2, 3
	v_and_b32_e32 v12, 31, v0
	v_and_b32_e32 v6, 0xe0, v0
	v_mov_b32_e32 v1, 0x400
	v_lshrrev_b32_e32 v0, 5, v0
	s_and_b32 s2, s2, 0x7fffff8
	v_lshl_or_b32 v5, v6, 2, v1
	v_or_b32_e32 v0, s2, v0
	v_lshl_or_b32 v1, v12, 2, v5
	v_mov_b32_e32 v4, -1
	s_waitcnt lgkmcnt(0)
	v_cmp_gt_i32_e32 vcc, s3, v0
	ds_write_b32 v1, v4
	s_waitcnt lgkmcnt(0)
	s_and_saveexec_b64 s[2:3], vcc
	s_cbranch_execz .LBB1_80
; %bb.9:
	s_load_dwordx16 s[4:19], s[0:1], 0x8
	v_lshlrev_b32_e32 v0, 2, v0
	v_lshlrev_b32_e32 v15, 2, v6
	s_waitcnt lgkmcnt(0)
	global_load_dword v0, v0, s[14:15]
	s_waitcnt vmcnt(0)
	v_ashrrev_i32_e32 v1, 31, v0
	v_lshlrev_b64 v[8:9], 2, v[0:1]
	v_lshl_add_u64 v[10:11], s[4:5], 0, v[8:9]
	global_load_dwordx2 v[10:11], v[10:11], off
	v_lshl_add_u64 v[8:9], s[10:11], 0, v[8:9]
	global_load_dword v4, v[8:9], off
	s_waitcnt vmcnt(1)
	v_subrev_u32_e32 v6, s28, v10
	v_subrev_u32_e32 v7, s28, v11
	v_add_u32_e32 v8, v6, v12
	v_cmp_lt_i32_e32 vcc, v8, v7
	s_and_saveexec_b64 s[2:3], vcc
	s_cbranch_execz .LBB1_32
; %bb.10:
	s_mov_b64 s[14:15], 0
	v_mov_b32_e32 v10, -1
	s_branch .LBB1_12
.LBB1_11:                               ;   in Loop: Header=BB1_12 Depth=1
	s_or_b64 exec, exec, s[22:23]
	v_add_u32_e32 v8, 32, v8
	v_cmp_ge_i32_e32 vcc, v8, v7
	s_or_b64 s[14:15], vcc, s[14:15]
	s_andn2_b64 exec, exec, s[14:15]
	s_cbranch_execz .LBB1_32
.LBB1_12:                               ; =>This Loop Header: Depth=1
                                        ;     Child Loop BB1_21 Depth 2
	v_ashrrev_i32_e32 v9, 31, v8
	v_lshl_add_u64 v[16:17], v[8:9], 2, s[6:7]
	global_load_dword v9, v[16:17], off
	v_mov_b32_e32 v11, 32
	s_mov_b64 s[24:25], 0
                                        ; implicit-def: $sgpr22_sgpr23
                                        ; implicit-def: $sgpr26_sgpr27
                                        ; implicit-def: $sgpr34_sgpr35
	s_waitcnt vmcnt(0)
	v_mul_lo_u32 v17, v9, 7
	s_branch .LBB1_21
.LBB1_13:                               ;   in Loop: Header=BB1_21 Depth=2
	s_or_b64 exec, exec, s[54:55]
	s_orn2_b64 s[50:51], s[50:51], exec
	s_orn2_b64 s[52:53], s[52:53], exec
.LBB1_14:                               ;   in Loop: Header=BB1_21 Depth=2
	s_or_b64 exec, exec, s[48:49]
	s_and_b64 s[50:51], s[50:51], exec
	s_orn2_b64 s[48:49], s[52:53], exec
.LBB1_15:                               ;   in Loop: Header=BB1_21 Depth=2
	s_or_b64 exec, exec, s[46:47]
	s_orn2_b64 s[50:51], s[50:51], exec
	s_orn2_b64 s[46:47], s[48:49], exec
.LBB1_16:                               ;   in Loop: Header=BB1_21 Depth=2
	s_or_b64 exec, exec, s[44:45]
	s_and_b64 s[48:49], s[50:51], exec
	s_orn2_b64 s[44:45], s[46:47], exec
.LBB1_17:                               ;   in Loop: Header=BB1_21 Depth=2
	s_or_b64 exec, exec, s[42:43]
	s_orn2_b64 s[42:43], s[48:49], exec
	s_orn2_b64 s[44:45], s[44:45], exec
.LBB1_18:                               ;   in Loop: Header=BB1_21 Depth=2
	s_or_b64 exec, exec, s[40:41]
	s_and_b64 s[42:43], s[42:43], exec
	s_orn2_b64 s[40:41], s[44:45], exec
.LBB1_19:                               ;   in Loop: Header=BB1_21 Depth=2
	s_or_b64 exec, exec, s[38:39]
	s_andn2_b64 s[34:35], s[34:35], exec
	s_and_b64 s[38:39], s[42:43], exec
	s_or_b64 s[34:35], s[34:35], s[38:39]
	s_andn2_b64 s[26:27], s[26:27], exec
	s_and_b64 s[38:39], s[40:41], exec
	s_or_b64 s[26:27], s[26:27], s[38:39]
.LBB1_20:                               ;   in Loop: Header=BB1_21 Depth=2
	s_or_b64 exec, exec, s[36:37]
	s_and_b64 s[36:37], exec, s[26:27]
	s_or_b64 s[24:25], s[36:37], s[24:25]
	s_andn2_b64 s[22:23], s[22:23], exec
	s_and_b64 s[36:37], s[34:35], exec
	s_or_b64 s[22:23], s[22:23], s[36:37]
	s_andn2_b64 exec, exec, s[24:25]
	s_cbranch_execz .LBB1_30
.LBB1_21:                               ;   Parent Loop BB1_12 Depth=1
                                        ; =>  This Inner Loop Header: Depth=2
	v_and_b32_e32 v16, 31, v17
	v_lshl_add_u32 v18, v16, 2, v5
	ds_read_b32 v19, v18
	s_or_b64 s[34:35], s[34:35], exec
	s_or_b64 s[26:27], s[26:27], exec
	s_waitcnt lgkmcnt(0)
	v_cmp_ne_u32_e32 vcc, v19, v9
	s_and_saveexec_b64 s[36:37], vcc
	s_cbranch_execz .LBB1_20
; %bb.22:                               ;   in Loop: Header=BB1_21 Depth=2
	ds_cmpst_rtn_b32 v18, v18, v10, v9
	s_mov_b64 s[40:41], -1
	s_mov_b64 s[42:43], 0
	s_waitcnt lgkmcnt(0)
	v_cmp_ne_u32_e32 vcc, -1, v18
	s_and_saveexec_b64 s[38:39], vcc
	s_cbranch_execz .LBB1_19
; %bb.23:                               ;   in Loop: Header=BB1_21 Depth=2
	v_add_u32_e32 v16, 1, v17
	v_and_b32_e32 v16, 31, v16
	v_lshl_add_u32 v18, v16, 2, v5
	ds_read_b32 v19, v18
	s_mov_b64 s[44:45], -1
	s_mov_b64 s[42:43], -1
	s_waitcnt lgkmcnt(0)
	v_cmp_ne_u32_e32 vcc, v19, v9
	s_and_saveexec_b64 s[40:41], vcc
	s_cbranch_execz .LBB1_18
; %bb.24:                               ;   in Loop: Header=BB1_21 Depth=2
	ds_cmpst_rtn_b32 v18, v18, v10, v9
	s_mov_b64 s[48:49], 0
	s_waitcnt lgkmcnt(0)
	v_cmp_ne_u32_e32 vcc, -1, v18
	s_and_saveexec_b64 s[42:43], vcc
	s_cbranch_execz .LBB1_17
; %bb.25:                               ;   in Loop: Header=BB1_21 Depth=2
	v_add_u32_e32 v16, 2, v17
	v_and_b32_e32 v16, 31, v16
	v_lshl_add_u32 v18, v16, 2, v5
	ds_read_b32 v19, v18
	s_mov_b64 s[46:47], -1
	s_mov_b64 s[50:51], -1
	s_waitcnt lgkmcnt(0)
	v_cmp_ne_u32_e32 vcc, v19, v9
	s_and_saveexec_b64 s[44:45], vcc
	s_cbranch_execz .LBB1_16
; %bb.26:                               ;   in Loop: Header=BB1_21 Depth=2
	ds_cmpst_rtn_b32 v18, v18, v10, v9
	s_mov_b64 s[48:49], -1
	s_mov_b64 s[50:51], 0
	s_waitcnt lgkmcnt(0)
	v_cmp_ne_u32_e32 vcc, -1, v18
	s_and_saveexec_b64 s[46:47], vcc
	s_cbranch_execz .LBB1_15
; %bb.27:                               ;   in Loop: Header=BB1_21 Depth=2
	v_add_u32_e32 v16, 3, v17
	v_and_b32_e32 v16, 31, v16
	v_lshl_add_u32 v18, v16, 2, v5
	ds_read_b32 v17, v18
	s_mov_b64 s[52:53], -1
	s_mov_b64 s[50:51], -1
	s_waitcnt lgkmcnt(0)
	v_cmp_ne_u32_e32 vcc, v17, v9
                                        ; implicit-def: $vgpr17
	s_and_saveexec_b64 s[48:49], vcc
	s_cbranch_execz .LBB1_14
; %bb.28:                               ;   in Loop: Header=BB1_21 Depth=2
	ds_cmpst_rtn_b32 v17, v18, v10, v9
	s_mov_b64 s[50:51], 0
	s_waitcnt lgkmcnt(0)
	v_cmp_ne_u32_e32 vcc, -1, v17
                                        ; implicit-def: $vgpr17
	s_and_saveexec_b64 s[54:55], vcc
	s_cbranch_execz .LBB1_13
; %bb.29:                               ;   in Loop: Header=BB1_21 Depth=2
	v_add_u32_e32 v11, -4, v11
	v_cmp_eq_u32_e32 vcc, 0, v11
	s_mov_b64 s[50:51], exec
	v_add_u32_e32 v17, 1, v16
	s_orn2_b64 s[52:53], vcc, exec
	s_branch .LBB1_13
.LBB1_30:                               ;   in Loop: Header=BB1_12 Depth=1
	s_or_b64 exec, exec, s[24:25]
	s_xor_b64 s[22:23], s[22:23], -1
	s_and_saveexec_b64 s[24:25], s[22:23]
	s_xor_b64 s[22:23], exec, s[24:25]
	s_cbranch_execz .LBB1_11
; %bb.31:                               ;   in Loop: Header=BB1_12 Depth=1
	v_lshl_add_u32 v9, v16, 2, v15
	ds_write_b32 v9, v8
	s_branch .LBB1_11
.LBB1_32:
	s_or_b64 exec, exec, s[2:3]
	s_waitcnt vmcnt(0)
	v_cmp_lt_i32_e32 vcc, v6, v4
	s_waitcnt lgkmcnt(0)
	s_and_saveexec_b64 s[2:3], vcc
	s_cbranch_execz .LBB1_62
; %bb.33:
	v_add_u32_e32 v16, 1, v12
	s_mov_b64 s[14:15], 0
	s_branch .LBB1_36
.LBB1_34:                               ;   in Loop: Header=BB1_36 Depth=1
	s_or_b64 exec, exec, s[24:25]
	v_add_u32_e32 v6, 1, v6
	v_cmp_ge_i32_e32 vcc, v6, v4
	s_orn2_b64 s[24:25], vcc, exec
.LBB1_35:                               ;   in Loop: Header=BB1_36 Depth=1
	s_or_b64 exec, exec, s[22:23]
	s_and_b64 s[22:23], exec, s[24:25]
	s_or_b64 s[14:15], s[22:23], s[14:15]
	s_andn2_b64 exec, exec, s[14:15]
	s_cbranch_execz .LBB1_62
.LBB1_36:                               ; =>This Loop Header: Depth=1
                                        ;     Child Loop BB1_37 Depth 2
                                        ;     Child Loop BB1_42 Depth 2
                                        ;       Child Loop BB1_51 Depth 3
	v_ashrrev_i32_e32 v7, 31, v6
	v_lshlrev_b64 v[8:9], 2, v[6:7]
	v_lshl_add_u64 v[10:11], s[6:7], 0, v[8:9]
	global_load_dword v7, v[10:11], off
	v_lshl_add_u64 v[8:9], s[8:9], 0, v[8:9]
	global_load_dword v17, v[8:9], off
	s_mov_b64 s[22:23], 0
	s_waitcnt vmcnt(1)
	v_subrev_u32_e32 v10, s28, v7
	v_ashrrev_i32_e32 v11, 31, v10
	v_lshlrev_b64 v[10:11], 2, v[10:11]
	v_lshl_add_u64 v[20:21], s[4:5], 0, v[10:11]
	v_lshl_add_u64 v[22:23], s[10:11], 0, v[10:11]
	global_load_dword v7, v[20:21], off offset:4
	global_load_dword v18, v[22:23], off
	v_lshl_add_u64 v[10:11], s[12:13], 0, v[10:11]
.LBB1_37:                               ;   Parent Loop BB1_36 Depth=1
                                        ; =>  This Inner Loop Header: Depth=2
	global_load_dword v19, v[10:11], off sc1
	s_waitcnt vmcnt(0)
	v_cmp_ne_u32_e32 vcc, 0, v19
	s_or_b64 s[22:23], vcc, s[22:23]
	s_andn2_b64 exec, exec, s[22:23]
	s_cbranch_execnz .LBB1_37
; %bb.38:                               ;   in Loop: Header=BB1_36 Depth=1
	s_or_b64 exec, exec, s[22:23]
	v_subrev_u32_e32 v7, s28, v7
	v_add_u32_e32 v10, -1, v7
	v_cmp_eq_u32_e32 vcc, -1, v18
	buffer_inv sc1
	s_mov_b64 s[24:25], -1
	v_cndmask_b32_e32 v10, v18, v10, vcc
	v_ashrrev_i32_e32 v11, 31, v10
	v_lshl_add_u64 v[18:19], v[10:11], 2, s[8:9]
	global_load_dword v11, v[18:19], off
	s_waitcnt vmcnt(0)
	v_cmp_neq_f32_e32 vcc, 0, v11
	s_and_saveexec_b64 s[22:23], vcc
	s_cbranch_execz .LBB1_35
; %bb.39:                               ;   in Loop: Header=BB1_36 Depth=1
	v_div_scale_f32 v18, s[24:25], v11, v11, v17
	v_rcp_f32_e32 v19, v18
	v_div_scale_f32 v20, vcc, v17, v11, v17
	v_fma_f32 v21, -v18, v19, 1.0
	v_fmac_f32_e32 v19, v21, v19
	v_mul_f32_e32 v21, v20, v19
	v_fma_f32 v22, -v18, v21, v20
	v_fmac_f32_e32 v21, v22, v19
	v_fma_f32 v18, -v18, v21, v20
	v_div_fmas_f32 v18, v18, v19, v21
	v_div_fixup_f32 v11, v18, v11, v17
	global_store_dword v[8:9], v11, off
	v_add_u32_e32 v8, v16, v10
	v_cmp_lt_i32_e32 vcc, v8, v7
	s_and_saveexec_b64 s[24:25], vcc
	s_cbranch_execz .LBB1_34
; %bb.40:                               ;   in Loop: Header=BB1_36 Depth=1
	s_mov_b64 s[26:27], 0
	s_branch .LBB1_42
.LBB1_41:                               ;   in Loop: Header=BB1_42 Depth=2
	s_or_b64 exec, exec, s[34:35]
	v_add_u32_e32 v8, 32, v8
	v_cmp_ge_i32_e32 vcc, v8, v7
	s_or_b64 s[26:27], vcc, s[26:27]
	s_andn2_b64 exec, exec, s[26:27]
	s_cbranch_execz .LBB1_34
.LBB1_42:                               ;   Parent Loop BB1_36 Depth=1
                                        ; =>  This Loop Header: Depth=2
                                        ;       Child Loop BB1_51 Depth 3
	v_ashrrev_i32_e32 v9, 31, v8
	v_lshl_add_u64 v[18:19], v[8:9], 2, s[6:7]
	global_load_dword v10, v[18:19], off
	v_mov_b32_e32 v17, 32
	s_mov_b64 s[36:37], 0
                                        ; implicit-def: $sgpr34_sgpr35
                                        ; implicit-def: $sgpr38_sgpr39
                                        ; implicit-def: $sgpr40_sgpr41
	s_waitcnt vmcnt(0)
	v_mul_lo_u32 v19, v10, 7
	s_branch .LBB1_51
.LBB1_43:                               ;   in Loop: Header=BB1_51 Depth=3
	s_or_b64 exec, exec, s[60:61]
	s_orn2_b64 s[56:57], s[56:57], exec
	s_orn2_b64 s[58:59], s[58:59], exec
.LBB1_44:                               ;   in Loop: Header=BB1_51 Depth=3
	s_or_b64 exec, exec, s[54:55]
	s_and_b64 s[56:57], s[56:57], exec
	s_orn2_b64 s[54:55], s[58:59], exec
.LBB1_45:                               ;   in Loop: Header=BB1_51 Depth=3
	s_or_b64 exec, exec, s[52:53]
	s_orn2_b64 s[56:57], s[56:57], exec
	s_orn2_b64 s[52:53], s[54:55], exec
.LBB1_46:                               ;   in Loop: Header=BB1_51 Depth=3
	s_or_b64 exec, exec, s[50:51]
	s_and_b64 s[54:55], s[56:57], exec
	s_orn2_b64 s[50:51], s[52:53], exec
.LBB1_47:                               ;   in Loop: Header=BB1_51 Depth=3
	s_or_b64 exec, exec, s[48:49]
	s_orn2_b64 s[48:49], s[54:55], exec
	s_orn2_b64 s[50:51], s[50:51], exec
.LBB1_48:                               ;   in Loop: Header=BB1_51 Depth=3
	s_or_b64 exec, exec, s[46:47]
	s_and_b64 s[48:49], s[48:49], exec
	s_orn2_b64 s[46:47], s[50:51], exec
.LBB1_49:                               ;   in Loop: Header=BB1_51 Depth=3
	s_or_b64 exec, exec, s[44:45]
	s_andn2_b64 s[40:41], s[40:41], exec
	s_and_b64 s[44:45], s[48:49], exec
	s_or_b64 s[40:41], s[40:41], s[44:45]
	s_andn2_b64 s[38:39], s[38:39], exec
	s_and_b64 s[44:45], s[46:47], exec
	s_or_b64 s[38:39], s[38:39], s[44:45]
.LBB1_50:                               ;   in Loop: Header=BB1_51 Depth=3
	s_or_b64 exec, exec, s[42:43]
	s_and_b64 s[42:43], exec, s[38:39]
	s_or_b64 s[36:37], s[42:43], s[36:37]
	s_andn2_b64 s[34:35], s[34:35], exec
	s_and_b64 s[42:43], s[40:41], exec
	s_or_b64 s[34:35], s[34:35], s[42:43]
	s_andn2_b64 exec, exec, s[36:37]
	s_cbranch_execz .LBB1_60
.LBB1_51:                               ;   Parent Loop BB1_36 Depth=1
                                        ;     Parent Loop BB1_42 Depth=2
                                        ; =>    This Inner Loop Header: Depth=3
	v_and_b32_e32 v18, 31, v19
	v_lshl_add_u32 v20, v18, 2, v5
	ds_read_b32 v20, v20
	s_or_b64 s[40:41], s[40:41], exec
	s_or_b64 s[38:39], s[38:39], exec
	s_waitcnt lgkmcnt(0)
	v_cmp_ne_u32_e32 vcc, -1, v20
	s_and_saveexec_b64 s[42:43], vcc
	s_cbranch_execz .LBB1_50
; %bb.52:                               ;   in Loop: Header=BB1_51 Depth=3
	v_cmp_ne_u32_e32 vcc, v20, v10
	s_mov_b64 s[46:47], -1
	s_mov_b64 s[48:49], 0
	s_and_saveexec_b64 s[44:45], vcc
	s_cbranch_execz .LBB1_49
; %bb.53:                               ;   in Loop: Header=BB1_51 Depth=3
	v_add_u32_e32 v18, 1, v19
	v_and_b32_e32 v18, 31, v18
	v_lshl_add_u32 v20, v18, 2, v5
	ds_read_b32 v20, v20
	s_mov_b64 s[50:51], -1
	s_mov_b64 s[48:49], -1
	s_waitcnt lgkmcnt(0)
	v_cmp_ne_u32_e32 vcc, -1, v20
	s_and_saveexec_b64 s[46:47], vcc
	s_cbranch_execz .LBB1_48
; %bb.54:                               ;   in Loop: Header=BB1_51 Depth=3
	v_cmp_ne_u32_e32 vcc, v20, v10
	s_mov_b64 s[54:55], 0
	s_and_saveexec_b64 s[48:49], vcc
	s_cbranch_execz .LBB1_47
; %bb.55:                               ;   in Loop: Header=BB1_51 Depth=3
	v_add_u32_e32 v18, 2, v19
	v_and_b32_e32 v18, 31, v18
	v_lshl_add_u32 v20, v18, 2, v5
	ds_read_b32 v20, v20
	s_mov_b64 s[52:53], -1
	s_mov_b64 s[56:57], -1
	s_waitcnt lgkmcnt(0)
	v_cmp_ne_u32_e32 vcc, -1, v20
	s_and_saveexec_b64 s[50:51], vcc
	s_cbranch_execz .LBB1_46
; %bb.56:                               ;   in Loop: Header=BB1_51 Depth=3
	v_cmp_ne_u32_e32 vcc, v20, v10
	s_mov_b64 s[54:55], -1
	s_mov_b64 s[56:57], 0
	s_and_saveexec_b64 s[52:53], vcc
	s_cbranch_execz .LBB1_45
; %bb.57:                               ;   in Loop: Header=BB1_51 Depth=3
	v_add_u32_e32 v18, 3, v19
	v_and_b32_e32 v18, 31, v18
	v_lshl_add_u32 v19, v18, 2, v5
	ds_read_b32 v20, v19
	s_mov_b64 s[58:59], -1
	s_mov_b64 s[56:57], -1
                                        ; implicit-def: $vgpr19
	s_waitcnt lgkmcnt(0)
	v_cmp_ne_u32_e32 vcc, -1, v20
	s_and_saveexec_b64 s[54:55], vcc
	s_cbranch_execz .LBB1_44
; %bb.58:                               ;   in Loop: Header=BB1_51 Depth=3
	v_cmp_ne_u32_e32 vcc, v20, v10
	s_mov_b64 s[56:57], 0
                                        ; implicit-def: $vgpr19
	s_and_saveexec_b64 s[60:61], vcc
	s_cbranch_execz .LBB1_43
; %bb.59:                               ;   in Loop: Header=BB1_51 Depth=3
	v_add_u32_e32 v17, -4, v17
	v_cmp_eq_u32_e32 vcc, 0, v17
	s_mov_b64 s[56:57], exec
	v_add_u32_e32 v19, 1, v18
	s_orn2_b64 s[58:59], vcc, exec
	s_branch .LBB1_43
.LBB1_60:                               ;   in Loop: Header=BB1_42 Depth=2
	s_or_b64 exec, exec, s[36:37]
	s_xor_b64 s[34:35], s[34:35], -1
	s_and_saveexec_b64 s[36:37], s[34:35]
	s_xor_b64 s[34:35], exec, s[36:37]
	s_cbranch_execz .LBB1_41
; %bb.61:                               ;   in Loop: Header=BB1_42 Depth=2
	v_lshl_add_u32 v10, v18, 2, v15
	ds_read_b32 v18, v10
	v_lshl_add_u64 v[20:21], v[8:9], 2, s[8:9]
	s_waitcnt lgkmcnt(0)
	v_ashrrev_i32_e32 v19, 31, v18
	v_lshl_add_u64 v[18:19], v[18:19], 2, s[8:9]
	global_load_dword v9, v[20:21], off
	global_load_dword v10, v[18:19], off
	s_waitcnt vmcnt(0)
	v_fma_f32 v9, -v11, v9, v10
	global_store_dword v[18:19], v9, off
	s_branch .LBB1_41
.LBB1_62:
	s_or_b64 exec, exec, s[2:3]
	v_cmp_lt_i32_e32 vcc, -1, v4
	s_and_saveexec_b64 s[6:7], vcc
	s_cbranch_execz .LBB1_78
; %bb.63:
	v_mov_b32_e32 v5, 0
	v_lshl_add_u64 v[6:7], v[4:5], 2, s[8:9]
	global_load_dword v8, v[6:7], off
	v_cmp_eq_u32_e64 s[2:3], 0, v12
	s_andn2_b64 vcc, exec, s[30:31]
	s_waitcnt vmcnt(0)
	v_cmp_gt_f32_e64 s[4:5], 0, v8
	s_nop 1
	v_cndmask_b32_e64 v4, v8, -v8, s[4:5]
	v_cvt_f64_f32_e32 v[4:5], v4
	s_mov_b64 s[4:5], -1
	s_cbranch_vccnz .LBB1_67
; %bb.64:
	s_cmp_eq_u64 s[20:21], 8
	v_cvt_f64_f32_e32 v[10:11], v13
	s_cselect_b64 vcc, -1, 0
	v_cndmask_b32_e32 v3, v11, v3, vcc
	v_cndmask_b32_e32 v2, v10, v2, vcc
	v_cmp_ge_f64_e32 vcc, v[2:3], v[4:5]
	s_and_b64 s[8:9], s[2:3], vcc
	s_and_saveexec_b64 s[4:5], s[8:9]
	s_cbranch_execz .LBB1_66
; %bb.65:
	global_store_dword v[6:7], v14, off
	buffer_wbl2 sc1
	s_waitcnt vmcnt(0)
	buffer_inv sc1
.LBB1_66:
	s_or_b64 exec, exec, s[4:5]
	s_mov_b64 s[4:5], 0
.LBB1_67:
	s_andn2_b64 vcc, exec, s[4:5]
	s_cbranch_vccnz .LBB1_78
; %bb.68:
	s_load_dwordx2 s[0:1], s[0:1], 0x48
	v_add_u32_e32 v2, s28, v0
	s_waitcnt lgkmcnt(0)
	v_cmp_ge_f64_e32 vcc, s[0:1], v[4:5]
	s_and_b64 s[4:5], s[2:3], vcc
	s_and_saveexec_b64 s[0:1], s[4:5]
	s_cbranch_execz .LBB1_73
; %bb.69:
	s_mov_b64 s[4:5], exec
	s_brev_b32 s8, -2
.LBB1_70:                               ; =>This Inner Loop Header: Depth=1
	s_ff1_i32_b64 s9, s[4:5]
	v_readlane_b32 s14, v2, s9
	s_lshl_b64 s[10:11], 1, s9
	s_min_i32 s8, s8, s14
	s_andn2_b64 s[4:5], s[4:5], s[10:11]
	s_cmp_lg_u64 s[4:5], 0
	s_cbranch_scc1 .LBB1_70
; %bb.71:
	v_mbcnt_lo_u32_b32 v3, exec_lo, 0
	v_mbcnt_hi_u32_b32 v3, exec_hi, v3
	v_cmp_eq_u32_e32 vcc, 0, v3
	s_and_saveexec_b64 s[4:5], vcc
	s_xor_b64 s[4:5], exec, s[4:5]
	s_cbranch_execz .LBB1_73
; %bb.72:
	v_mov_b32_e32 v3, 0
	v_mov_b32_e32 v4, s8
	global_atomic_smin v3, v4, s[18:19]
.LBB1_73:
	s_or_b64 exec, exec, s[0:1]
	v_cmp_eq_f32_e32 vcc, 0, v8
	s_and_b64 s[0:1], s[2:3], vcc
	s_and_b64 exec, exec, s[0:1]
	s_cbranch_execz .LBB1_78
; %bb.74:
	s_mov_b64 s[0:1], exec
	s_brev_b32 s2, -2
.LBB1_75:                               ; =>This Inner Loop Header: Depth=1
	s_ff1_i32_b64 s3, s[0:1]
	v_readlane_b32 s8, v2, s3
	s_lshl_b64 s[4:5], 1, s3
	s_min_i32 s2, s2, s8
	s_andn2_b64 s[0:1], s[0:1], s[4:5]
	s_cmp_lg_u64 s[0:1], 0
	s_cbranch_scc1 .LBB1_75
; %bb.76:
	v_mbcnt_lo_u32_b32 v2, exec_lo, 0
	v_mbcnt_hi_u32_b32 v2, exec_hi, v2
	v_cmp_eq_u32_e32 vcc, 0, v2
	s_and_saveexec_b64 s[0:1], vcc
	s_xor_b64 s[0:1], exec, s[0:1]
	s_cbranch_execz .LBB1_78
; %bb.77:
	v_mov_b32_e32 v2, 0
	v_mov_b32_e32 v3, s2
	global_atomic_smin v2, v3, s[16:17]
.LBB1_78:
	s_or_b64 exec, exec, s[6:7]
	v_cmp_eq_u32_e32 vcc, 0, v12
	buffer_wbl2 sc1
	s_waitcnt vmcnt(0)
	buffer_inv sc1
	s_and_b64 exec, exec, vcc
	s_cbranch_execz .LBB1_80
; %bb.79:
	v_lshl_add_u64 v[0:1], v[0:1], 2, s[12:13]
	v_mov_b32_e32 v2, 1
	buffer_wbl2 sc1
	global_store_dword v[0:1], v2, off sc1
.LBB1_80:
	s_endpgm
	.section	.rodata,"a",@progbits
	.p2align	6, 0x0
	.amdhsa_kernel _ZN9rocsparseL12csrilu0_hashILj256ELj32ELj1EfEEviPKiS2_PT2_S2_PiS2_S5_S5_d21rocsparse_index_base_imNS_24const_host_device_scalarIfEENS7_IdEENS7_IS3_EEb
		.amdhsa_group_segment_fixed_size 2048
		.amdhsa_private_segment_fixed_size 0
		.amdhsa_kernarg_size 124
		.amdhsa_user_sgpr_count 2
		.amdhsa_user_sgpr_dispatch_ptr 0
		.amdhsa_user_sgpr_queue_ptr 0
		.amdhsa_user_sgpr_kernarg_segment_ptr 1
		.amdhsa_user_sgpr_dispatch_id 0
		.amdhsa_user_sgpr_kernarg_preload_length 0
		.amdhsa_user_sgpr_kernarg_preload_offset 0
		.amdhsa_user_sgpr_private_segment_size 0
		.amdhsa_uses_dynamic_stack 0
		.amdhsa_enable_private_segment 0
		.amdhsa_system_sgpr_workgroup_id_x 1
		.amdhsa_system_sgpr_workgroup_id_y 0
		.amdhsa_system_sgpr_workgroup_id_z 0
		.amdhsa_system_sgpr_workgroup_info 0
		.amdhsa_system_vgpr_workitem_id 0
		.amdhsa_next_free_vgpr 24
		.amdhsa_next_free_sgpr 62
		.amdhsa_accum_offset 24
		.amdhsa_reserve_vcc 1
		.amdhsa_float_round_mode_32 0
		.amdhsa_float_round_mode_16_64 0
		.amdhsa_float_denorm_mode_32 3
		.amdhsa_float_denorm_mode_16_64 3
		.amdhsa_dx10_clamp 1
		.amdhsa_ieee_mode 1
		.amdhsa_fp16_overflow 0
		.amdhsa_tg_split 0
		.amdhsa_exception_fp_ieee_invalid_op 0
		.amdhsa_exception_fp_denorm_src 0
		.amdhsa_exception_fp_ieee_div_zero 0
		.amdhsa_exception_fp_ieee_overflow 0
		.amdhsa_exception_fp_ieee_underflow 0
		.amdhsa_exception_fp_ieee_inexact 0
		.amdhsa_exception_int_div_zero 0
	.end_amdhsa_kernel
	.section	.text._ZN9rocsparseL12csrilu0_hashILj256ELj32ELj1EfEEviPKiS2_PT2_S2_PiS2_S5_S5_d21rocsparse_index_base_imNS_24const_host_device_scalarIfEENS7_IdEENS7_IS3_EEb,"axG",@progbits,_ZN9rocsparseL12csrilu0_hashILj256ELj32ELj1EfEEviPKiS2_PT2_S2_PiS2_S5_S5_d21rocsparse_index_base_imNS_24const_host_device_scalarIfEENS7_IdEENS7_IS3_EEb,comdat
.Lfunc_end1:
	.size	_ZN9rocsparseL12csrilu0_hashILj256ELj32ELj1EfEEviPKiS2_PT2_S2_PiS2_S5_S5_d21rocsparse_index_base_imNS_24const_host_device_scalarIfEENS7_IdEENS7_IS3_EEb, .Lfunc_end1-_ZN9rocsparseL12csrilu0_hashILj256ELj32ELj1EfEEviPKiS2_PT2_S2_PiS2_S5_S5_d21rocsparse_index_base_imNS_24const_host_device_scalarIfEENS7_IdEENS7_IS3_EEb
                                        ; -- End function
	.set _ZN9rocsparseL12csrilu0_hashILj256ELj32ELj1EfEEviPKiS2_PT2_S2_PiS2_S5_S5_d21rocsparse_index_base_imNS_24const_host_device_scalarIfEENS7_IdEENS7_IS3_EEb.num_vgpr, 24
	.set _ZN9rocsparseL12csrilu0_hashILj256ELj32ELj1EfEEviPKiS2_PT2_S2_PiS2_S5_S5_d21rocsparse_index_base_imNS_24const_host_device_scalarIfEENS7_IdEENS7_IS3_EEb.num_agpr, 0
	.set _ZN9rocsparseL12csrilu0_hashILj256ELj32ELj1EfEEviPKiS2_PT2_S2_PiS2_S5_S5_d21rocsparse_index_base_imNS_24const_host_device_scalarIfEENS7_IdEENS7_IS3_EEb.numbered_sgpr, 62
	.set _ZN9rocsparseL12csrilu0_hashILj256ELj32ELj1EfEEviPKiS2_PT2_S2_PiS2_S5_S5_d21rocsparse_index_base_imNS_24const_host_device_scalarIfEENS7_IdEENS7_IS3_EEb.num_named_barrier, 0
	.set _ZN9rocsparseL12csrilu0_hashILj256ELj32ELj1EfEEviPKiS2_PT2_S2_PiS2_S5_S5_d21rocsparse_index_base_imNS_24const_host_device_scalarIfEENS7_IdEENS7_IS3_EEb.private_seg_size, 0
	.set _ZN9rocsparseL12csrilu0_hashILj256ELj32ELj1EfEEviPKiS2_PT2_S2_PiS2_S5_S5_d21rocsparse_index_base_imNS_24const_host_device_scalarIfEENS7_IdEENS7_IS3_EEb.uses_vcc, 1
	.set _ZN9rocsparseL12csrilu0_hashILj256ELj32ELj1EfEEviPKiS2_PT2_S2_PiS2_S5_S5_d21rocsparse_index_base_imNS_24const_host_device_scalarIfEENS7_IdEENS7_IS3_EEb.uses_flat_scratch, 0
	.set _ZN9rocsparseL12csrilu0_hashILj256ELj32ELj1EfEEviPKiS2_PT2_S2_PiS2_S5_S5_d21rocsparse_index_base_imNS_24const_host_device_scalarIfEENS7_IdEENS7_IS3_EEb.has_dyn_sized_stack, 0
	.set _ZN9rocsparseL12csrilu0_hashILj256ELj32ELj1EfEEviPKiS2_PT2_S2_PiS2_S5_S5_d21rocsparse_index_base_imNS_24const_host_device_scalarIfEENS7_IdEENS7_IS3_EEb.has_recursion, 0
	.set _ZN9rocsparseL12csrilu0_hashILj256ELj32ELj1EfEEviPKiS2_PT2_S2_PiS2_S5_S5_d21rocsparse_index_base_imNS_24const_host_device_scalarIfEENS7_IdEENS7_IS3_EEb.has_indirect_call, 0
	.section	.AMDGPU.csdata,"",@progbits
; Kernel info:
; codeLenInByte = 2404
; TotalNumSgprs: 68
; NumVgprs: 24
; NumAgprs: 0
; TotalNumVgprs: 24
; ScratchSize: 0
; MemoryBound: 0
; FloatMode: 240
; IeeeMode: 1
; LDSByteSize: 2048 bytes/workgroup (compile time only)
; SGPRBlocks: 8
; VGPRBlocks: 2
; NumSGPRsForWavesPerEU: 68
; NumVGPRsForWavesPerEU: 24
; AccumOffset: 24
; Occupancy: 8
; WaveLimiterHint : 1
; COMPUTE_PGM_RSRC2:SCRATCH_EN: 0
; COMPUTE_PGM_RSRC2:USER_SGPR: 2
; COMPUTE_PGM_RSRC2:TRAP_HANDLER: 0
; COMPUTE_PGM_RSRC2:TGID_X_EN: 1
; COMPUTE_PGM_RSRC2:TGID_Y_EN: 0
; COMPUTE_PGM_RSRC2:TGID_Z_EN: 0
; COMPUTE_PGM_RSRC2:TIDIG_COMP_CNT: 0
; COMPUTE_PGM_RSRC3_GFX90A:ACCUM_OFFSET: 5
; COMPUTE_PGM_RSRC3_GFX90A:TG_SPLIT: 0
	.section	.text._ZN9rocsparseL12csrilu0_hashILj256ELj32ELj2EfEEviPKiS2_PT2_S2_PiS2_S5_S5_d21rocsparse_index_base_imNS_24const_host_device_scalarIfEENS7_IdEENS7_IS3_EEb,"axG",@progbits,_ZN9rocsparseL12csrilu0_hashILj256ELj32ELj2EfEEviPKiS2_PT2_S2_PiS2_S5_S5_d21rocsparse_index_base_imNS_24const_host_device_scalarIfEENS7_IdEENS7_IS3_EEb,comdat
	.globl	_ZN9rocsparseL12csrilu0_hashILj256ELj32ELj2EfEEviPKiS2_PT2_S2_PiS2_S5_S5_d21rocsparse_index_base_imNS_24const_host_device_scalarIfEENS7_IdEENS7_IS3_EEb ; -- Begin function _ZN9rocsparseL12csrilu0_hashILj256ELj32ELj2EfEEviPKiS2_PT2_S2_PiS2_S5_S5_d21rocsparse_index_base_imNS_24const_host_device_scalarIfEENS7_IdEENS7_IS3_EEb
	.p2align	8
	.type	_ZN9rocsparseL12csrilu0_hashILj256ELj32ELj2EfEEviPKiS2_PT2_S2_PiS2_S5_S5_d21rocsparse_index_base_imNS_24const_host_device_scalarIfEENS7_IdEENS7_IS3_EEb,@function
_ZN9rocsparseL12csrilu0_hashILj256ELj32ELj2EfEEviPKiS2_PT2_S2_PiS2_S5_S5_d21rocsparse_index_base_imNS_24const_host_device_scalarIfEENS7_IdEENS7_IS3_EEb: ; @_ZN9rocsparseL12csrilu0_hashILj256ELj32ELj2EfEEviPKiS2_PT2_S2_PiS2_S5_S5_d21rocsparse_index_base_imNS_24const_host_device_scalarIfEENS7_IdEENS7_IS3_EEb
; %bb.0:
	s_load_dword s3, s[0:1], 0x78
	s_load_dwordx2 s[28:29], s[0:1], 0x50
	s_load_dwordx8 s[20:27], s[0:1], 0x58
	s_waitcnt lgkmcnt(0)
	s_bitcmp1_b32 s3, 0
	s_cselect_b64 s[4:5], -1, 0
	s_cmp_eq_u32 s29, 0
	s_cselect_b64 s[6:7], -1, 0
	s_cmp_lg_u32 s29, 0
	s_cselect_b64 s[30:31], -1, 0
	s_or_b64 s[4:5], s[6:7], s[4:5]
	s_xor_b64 s[8:9], s[4:5], -1
	s_and_b64 s[10:11], s[6:7], exec
	s_cselect_b32 s11, 0, s25
	s_cselect_b32 s10, 0, s24
	s_and_b64 vcc, exec, s[4:5]
	s_cbranch_vccnz .LBB2_2
; %bb.1:
	s_load_dword s3, s[22:23], 0x0
	s_mov_b64 s[10:11], s[24:25]
	s_waitcnt lgkmcnt(0)
	v_mov_b32_e32 v13, s3
	s_branch .LBB2_3
.LBB2_2:
	v_mov_b32_e32 v1, s22
	v_cndmask_b32_e64 v13, v1, 0, s[6:7]
.LBB2_3:
	v_cndmask_b32_e64 v1, 0, 1, s[8:9]
	v_cmp_ne_u32_e64 s[4:5], 1, v1
	s_andn2_b64 vcc, exec, s[8:9]
	v_mov_b64_e32 v[2:3], s[10:11]
	s_cbranch_vccnz .LBB2_5
; %bb.4:
	v_mov_b64_e32 v[2:3], s[24:25]
	flat_load_dwordx2 v[2:3], v[2:3]
.LBB2_5:
	s_and_b64 vcc, exec, s[4:5]
	s_cbranch_vccnz .LBB2_7
; %bb.6:
	s_load_dword s3, s[26:27], 0x0
	s_waitcnt lgkmcnt(0)
	v_mov_b32_e32 v14, s3
	s_branch .LBB2_8
.LBB2_7:
	v_mov_b32_e32 v1, s26
	v_cndmask_b32_e64 v14, v1, 0, s[6:7]
.LBB2_8:
	s_load_dword s3, s[0:1], 0x0
	v_lshlrev_b32_e32 v1, 1, v0
	s_lshl_b32 s2, s2, 3
	v_and_b32_e32 v12, 31, v0
	v_and_b32_e32 v6, 0x1c0, v1
	v_mov_b32_e32 v1, 0x800
	v_lshrrev_b32_e32 v0, 5, v0
	s_and_b32 s2, s2, 0x7fffff8
	v_lshl_or_b32 v5, v6, 2, v1
	v_or_b32_e32 v0, s2, v0
	v_lshl_or_b32 v1, v12, 2, v5
	v_mov_b32_e32 v4, -1
	s_waitcnt lgkmcnt(0)
	v_cmp_gt_i32_e32 vcc, s3, v0
	ds_write2_b32 v1, v4, v4 offset1:32
	s_waitcnt lgkmcnt(0)
	s_and_saveexec_b64 s[2:3], vcc
	s_cbranch_execz .LBB2_80
; %bb.9:
	s_load_dwordx16 s[4:19], s[0:1], 0x8
	v_lshlrev_b32_e32 v0, 2, v0
	v_lshlrev_b32_e32 v15, 2, v6
	s_waitcnt lgkmcnt(0)
	global_load_dword v0, v0, s[14:15]
	s_waitcnt vmcnt(0)
	v_ashrrev_i32_e32 v1, 31, v0
	v_lshlrev_b64 v[8:9], 2, v[0:1]
	v_lshl_add_u64 v[10:11], s[4:5], 0, v[8:9]
	global_load_dwordx2 v[10:11], v[10:11], off
	v_lshl_add_u64 v[8:9], s[10:11], 0, v[8:9]
	global_load_dword v4, v[8:9], off
	s_waitcnt vmcnt(1)
	v_subrev_u32_e32 v6, s28, v10
	v_subrev_u32_e32 v7, s28, v11
	v_add_u32_e32 v8, v6, v12
	v_cmp_lt_i32_e32 vcc, v8, v7
	s_and_saveexec_b64 s[2:3], vcc
	s_cbranch_execz .LBB2_32
; %bb.10:
	s_mov_b64 s[14:15], 0
	v_mov_b32_e32 v10, -1
	s_branch .LBB2_12
.LBB2_11:                               ;   in Loop: Header=BB2_12 Depth=1
	s_or_b64 exec, exec, s[22:23]
	v_add_u32_e32 v8, 32, v8
	v_cmp_ge_i32_e32 vcc, v8, v7
	s_or_b64 s[14:15], vcc, s[14:15]
	s_andn2_b64 exec, exec, s[14:15]
	s_cbranch_execz .LBB2_32
.LBB2_12:                               ; =>This Loop Header: Depth=1
                                        ;     Child Loop BB2_21 Depth 2
	v_ashrrev_i32_e32 v9, 31, v8
	v_lshl_add_u64 v[16:17], v[8:9], 2, s[6:7]
	global_load_dword v9, v[16:17], off
	v_mov_b32_e32 v11, 64
	s_mov_b64 s[24:25], 0
                                        ; implicit-def: $sgpr22_sgpr23
                                        ; implicit-def: $sgpr26_sgpr27
                                        ; implicit-def: $sgpr34_sgpr35
	s_waitcnt vmcnt(0)
	v_mul_lo_u32 v17, v9, 39
	s_branch .LBB2_21
.LBB2_13:                               ;   in Loop: Header=BB2_21 Depth=2
	s_or_b64 exec, exec, s[54:55]
	s_orn2_b64 s[50:51], s[50:51], exec
	s_orn2_b64 s[52:53], s[52:53], exec
.LBB2_14:                               ;   in Loop: Header=BB2_21 Depth=2
	s_or_b64 exec, exec, s[48:49]
	s_and_b64 s[50:51], s[50:51], exec
	s_orn2_b64 s[48:49], s[52:53], exec
.LBB2_15:                               ;   in Loop: Header=BB2_21 Depth=2
	s_or_b64 exec, exec, s[46:47]
	s_orn2_b64 s[50:51], s[50:51], exec
	s_orn2_b64 s[46:47], s[48:49], exec
.LBB2_16:                               ;   in Loop: Header=BB2_21 Depth=2
	s_or_b64 exec, exec, s[44:45]
	s_and_b64 s[48:49], s[50:51], exec
	s_orn2_b64 s[44:45], s[46:47], exec
.LBB2_17:                               ;   in Loop: Header=BB2_21 Depth=2
	s_or_b64 exec, exec, s[42:43]
	s_orn2_b64 s[42:43], s[48:49], exec
	s_orn2_b64 s[44:45], s[44:45], exec
.LBB2_18:                               ;   in Loop: Header=BB2_21 Depth=2
	s_or_b64 exec, exec, s[40:41]
	s_and_b64 s[42:43], s[42:43], exec
	s_orn2_b64 s[40:41], s[44:45], exec
.LBB2_19:                               ;   in Loop: Header=BB2_21 Depth=2
	s_or_b64 exec, exec, s[38:39]
	s_andn2_b64 s[34:35], s[34:35], exec
	s_and_b64 s[38:39], s[42:43], exec
	s_or_b64 s[34:35], s[34:35], s[38:39]
	s_andn2_b64 s[26:27], s[26:27], exec
	s_and_b64 s[38:39], s[40:41], exec
	s_or_b64 s[26:27], s[26:27], s[38:39]
.LBB2_20:                               ;   in Loop: Header=BB2_21 Depth=2
	s_or_b64 exec, exec, s[36:37]
	s_and_b64 s[36:37], exec, s[26:27]
	s_or_b64 s[24:25], s[36:37], s[24:25]
	s_andn2_b64 s[22:23], s[22:23], exec
	s_and_b64 s[36:37], s[34:35], exec
	s_or_b64 s[22:23], s[22:23], s[36:37]
	s_andn2_b64 exec, exec, s[24:25]
	s_cbranch_execz .LBB2_30
.LBB2_21:                               ;   Parent Loop BB2_12 Depth=1
                                        ; =>  This Inner Loop Header: Depth=2
	v_and_b32_e32 v16, 63, v17
	v_lshl_add_u32 v18, v16, 2, v5
	ds_read_b32 v19, v18
	s_or_b64 s[34:35], s[34:35], exec
	s_or_b64 s[26:27], s[26:27], exec
	s_waitcnt lgkmcnt(0)
	v_cmp_ne_u32_e32 vcc, v19, v9
	s_and_saveexec_b64 s[36:37], vcc
	s_cbranch_execz .LBB2_20
; %bb.22:                               ;   in Loop: Header=BB2_21 Depth=2
	ds_cmpst_rtn_b32 v18, v18, v10, v9
	s_mov_b64 s[40:41], -1
	s_mov_b64 s[42:43], 0
	s_waitcnt lgkmcnt(0)
	v_cmp_ne_u32_e32 vcc, -1, v18
	s_and_saveexec_b64 s[38:39], vcc
	s_cbranch_execz .LBB2_19
; %bb.23:                               ;   in Loop: Header=BB2_21 Depth=2
	v_add_u32_e32 v16, 1, v17
	v_and_b32_e32 v16, 63, v16
	v_lshl_add_u32 v18, v16, 2, v5
	ds_read_b32 v19, v18
	s_mov_b64 s[44:45], -1
	s_mov_b64 s[42:43], -1
	s_waitcnt lgkmcnt(0)
	v_cmp_ne_u32_e32 vcc, v19, v9
	s_and_saveexec_b64 s[40:41], vcc
	s_cbranch_execz .LBB2_18
; %bb.24:                               ;   in Loop: Header=BB2_21 Depth=2
	ds_cmpst_rtn_b32 v18, v18, v10, v9
	s_mov_b64 s[48:49], 0
	s_waitcnt lgkmcnt(0)
	v_cmp_ne_u32_e32 vcc, -1, v18
	s_and_saveexec_b64 s[42:43], vcc
	s_cbranch_execz .LBB2_17
; %bb.25:                               ;   in Loop: Header=BB2_21 Depth=2
	v_add_u32_e32 v16, 2, v17
	v_and_b32_e32 v16, 63, v16
	v_lshl_add_u32 v18, v16, 2, v5
	ds_read_b32 v19, v18
	s_mov_b64 s[46:47], -1
	s_mov_b64 s[50:51], -1
	s_waitcnt lgkmcnt(0)
	v_cmp_ne_u32_e32 vcc, v19, v9
	s_and_saveexec_b64 s[44:45], vcc
	s_cbranch_execz .LBB2_16
; %bb.26:                               ;   in Loop: Header=BB2_21 Depth=2
	ds_cmpst_rtn_b32 v18, v18, v10, v9
	s_mov_b64 s[48:49], -1
	s_mov_b64 s[50:51], 0
	s_waitcnt lgkmcnt(0)
	v_cmp_ne_u32_e32 vcc, -1, v18
	s_and_saveexec_b64 s[46:47], vcc
	s_cbranch_execz .LBB2_15
; %bb.27:                               ;   in Loop: Header=BB2_21 Depth=2
	v_add_u32_e32 v16, 3, v17
	v_and_b32_e32 v16, 63, v16
	v_lshl_add_u32 v18, v16, 2, v5
	ds_read_b32 v17, v18
	s_mov_b64 s[52:53], -1
	s_mov_b64 s[50:51], -1
	s_waitcnt lgkmcnt(0)
	v_cmp_ne_u32_e32 vcc, v17, v9
                                        ; implicit-def: $vgpr17
	s_and_saveexec_b64 s[48:49], vcc
	s_cbranch_execz .LBB2_14
; %bb.28:                               ;   in Loop: Header=BB2_21 Depth=2
	ds_cmpst_rtn_b32 v17, v18, v10, v9
	s_mov_b64 s[50:51], 0
	s_waitcnt lgkmcnt(0)
	v_cmp_ne_u32_e32 vcc, -1, v17
                                        ; implicit-def: $vgpr17
	s_and_saveexec_b64 s[54:55], vcc
	s_cbranch_execz .LBB2_13
; %bb.29:                               ;   in Loop: Header=BB2_21 Depth=2
	v_add_u32_e32 v11, -4, v11
	v_cmp_eq_u32_e32 vcc, 0, v11
	s_mov_b64 s[50:51], exec
	v_add_u32_e32 v17, 1, v16
	s_orn2_b64 s[52:53], vcc, exec
	s_branch .LBB2_13
.LBB2_30:                               ;   in Loop: Header=BB2_12 Depth=1
	s_or_b64 exec, exec, s[24:25]
	s_xor_b64 s[22:23], s[22:23], -1
	s_and_saveexec_b64 s[24:25], s[22:23]
	s_xor_b64 s[22:23], exec, s[24:25]
	s_cbranch_execz .LBB2_11
; %bb.31:                               ;   in Loop: Header=BB2_12 Depth=1
	v_lshl_add_u32 v9, v16, 2, v15
	ds_write_b32 v9, v8
	s_branch .LBB2_11
.LBB2_32:
	s_or_b64 exec, exec, s[2:3]
	s_waitcnt vmcnt(0)
	v_cmp_lt_i32_e32 vcc, v6, v4
	s_waitcnt lgkmcnt(0)
	s_and_saveexec_b64 s[2:3], vcc
	s_cbranch_execz .LBB2_62
; %bb.33:
	v_add_u32_e32 v16, 1, v12
	s_mov_b64 s[14:15], 0
	s_branch .LBB2_36
.LBB2_34:                               ;   in Loop: Header=BB2_36 Depth=1
	s_or_b64 exec, exec, s[24:25]
	v_add_u32_e32 v6, 1, v6
	v_cmp_ge_i32_e32 vcc, v6, v4
	s_orn2_b64 s[24:25], vcc, exec
.LBB2_35:                               ;   in Loop: Header=BB2_36 Depth=1
	s_or_b64 exec, exec, s[22:23]
	s_and_b64 s[22:23], exec, s[24:25]
	s_or_b64 s[14:15], s[22:23], s[14:15]
	s_andn2_b64 exec, exec, s[14:15]
	s_cbranch_execz .LBB2_62
.LBB2_36:                               ; =>This Loop Header: Depth=1
                                        ;     Child Loop BB2_37 Depth 2
                                        ;     Child Loop BB2_42 Depth 2
                                        ;       Child Loop BB2_51 Depth 3
	v_ashrrev_i32_e32 v7, 31, v6
	v_lshlrev_b64 v[8:9], 2, v[6:7]
	v_lshl_add_u64 v[10:11], s[6:7], 0, v[8:9]
	global_load_dword v7, v[10:11], off
	v_lshl_add_u64 v[8:9], s[8:9], 0, v[8:9]
	global_load_dword v17, v[8:9], off
	s_mov_b64 s[22:23], 0
	s_waitcnt vmcnt(1)
	v_subrev_u32_e32 v10, s28, v7
	v_ashrrev_i32_e32 v11, 31, v10
	v_lshlrev_b64 v[10:11], 2, v[10:11]
	v_lshl_add_u64 v[20:21], s[4:5], 0, v[10:11]
	v_lshl_add_u64 v[22:23], s[10:11], 0, v[10:11]
	global_load_dword v7, v[20:21], off offset:4
	global_load_dword v18, v[22:23], off
	v_lshl_add_u64 v[10:11], s[12:13], 0, v[10:11]
.LBB2_37:                               ;   Parent Loop BB2_36 Depth=1
                                        ; =>  This Inner Loop Header: Depth=2
	global_load_dword v19, v[10:11], off sc1
	s_waitcnt vmcnt(0)
	v_cmp_ne_u32_e32 vcc, 0, v19
	s_or_b64 s[22:23], vcc, s[22:23]
	s_andn2_b64 exec, exec, s[22:23]
	s_cbranch_execnz .LBB2_37
; %bb.38:                               ;   in Loop: Header=BB2_36 Depth=1
	s_or_b64 exec, exec, s[22:23]
	v_subrev_u32_e32 v7, s28, v7
	v_add_u32_e32 v10, -1, v7
	v_cmp_eq_u32_e32 vcc, -1, v18
	buffer_inv sc1
	s_mov_b64 s[24:25], -1
	v_cndmask_b32_e32 v10, v18, v10, vcc
	v_ashrrev_i32_e32 v11, 31, v10
	v_lshl_add_u64 v[18:19], v[10:11], 2, s[8:9]
	global_load_dword v11, v[18:19], off
	s_waitcnt vmcnt(0)
	v_cmp_neq_f32_e32 vcc, 0, v11
	s_and_saveexec_b64 s[22:23], vcc
	s_cbranch_execz .LBB2_35
; %bb.39:                               ;   in Loop: Header=BB2_36 Depth=1
	v_div_scale_f32 v18, s[24:25], v11, v11, v17
	v_rcp_f32_e32 v19, v18
	v_div_scale_f32 v20, vcc, v17, v11, v17
	v_fma_f32 v21, -v18, v19, 1.0
	v_fmac_f32_e32 v19, v21, v19
	v_mul_f32_e32 v21, v20, v19
	v_fma_f32 v22, -v18, v21, v20
	v_fmac_f32_e32 v21, v22, v19
	v_fma_f32 v18, -v18, v21, v20
	v_div_fmas_f32 v18, v18, v19, v21
	v_div_fixup_f32 v11, v18, v11, v17
	global_store_dword v[8:9], v11, off
	v_add_u32_e32 v8, v16, v10
	v_cmp_lt_i32_e32 vcc, v8, v7
	s_and_saveexec_b64 s[24:25], vcc
	s_cbranch_execz .LBB2_34
; %bb.40:                               ;   in Loop: Header=BB2_36 Depth=1
	s_mov_b64 s[26:27], 0
	s_branch .LBB2_42
.LBB2_41:                               ;   in Loop: Header=BB2_42 Depth=2
	s_or_b64 exec, exec, s[34:35]
	v_add_u32_e32 v8, 32, v8
	v_cmp_ge_i32_e32 vcc, v8, v7
	s_or_b64 s[26:27], vcc, s[26:27]
	s_andn2_b64 exec, exec, s[26:27]
	s_cbranch_execz .LBB2_34
.LBB2_42:                               ;   Parent Loop BB2_36 Depth=1
                                        ; =>  This Loop Header: Depth=2
                                        ;       Child Loop BB2_51 Depth 3
	v_ashrrev_i32_e32 v9, 31, v8
	v_lshl_add_u64 v[18:19], v[8:9], 2, s[6:7]
	global_load_dword v10, v[18:19], off
	v_mov_b32_e32 v17, 64
	s_mov_b64 s[36:37], 0
                                        ; implicit-def: $sgpr34_sgpr35
                                        ; implicit-def: $sgpr38_sgpr39
                                        ; implicit-def: $sgpr40_sgpr41
	s_waitcnt vmcnt(0)
	v_mul_lo_u32 v19, v10, 39
	s_branch .LBB2_51
.LBB2_43:                               ;   in Loop: Header=BB2_51 Depth=3
	s_or_b64 exec, exec, s[60:61]
	s_orn2_b64 s[56:57], s[56:57], exec
	s_orn2_b64 s[58:59], s[58:59], exec
.LBB2_44:                               ;   in Loop: Header=BB2_51 Depth=3
	s_or_b64 exec, exec, s[54:55]
	s_and_b64 s[56:57], s[56:57], exec
	s_orn2_b64 s[54:55], s[58:59], exec
.LBB2_45:                               ;   in Loop: Header=BB2_51 Depth=3
	s_or_b64 exec, exec, s[52:53]
	s_orn2_b64 s[56:57], s[56:57], exec
	s_orn2_b64 s[52:53], s[54:55], exec
.LBB2_46:                               ;   in Loop: Header=BB2_51 Depth=3
	s_or_b64 exec, exec, s[50:51]
	s_and_b64 s[54:55], s[56:57], exec
	s_orn2_b64 s[50:51], s[52:53], exec
.LBB2_47:                               ;   in Loop: Header=BB2_51 Depth=3
	s_or_b64 exec, exec, s[48:49]
	s_orn2_b64 s[48:49], s[54:55], exec
	s_orn2_b64 s[50:51], s[50:51], exec
.LBB2_48:                               ;   in Loop: Header=BB2_51 Depth=3
	s_or_b64 exec, exec, s[46:47]
	s_and_b64 s[48:49], s[48:49], exec
	s_orn2_b64 s[46:47], s[50:51], exec
.LBB2_49:                               ;   in Loop: Header=BB2_51 Depth=3
	s_or_b64 exec, exec, s[44:45]
	s_andn2_b64 s[40:41], s[40:41], exec
	s_and_b64 s[44:45], s[48:49], exec
	s_or_b64 s[40:41], s[40:41], s[44:45]
	s_andn2_b64 s[38:39], s[38:39], exec
	s_and_b64 s[44:45], s[46:47], exec
	s_or_b64 s[38:39], s[38:39], s[44:45]
.LBB2_50:                               ;   in Loop: Header=BB2_51 Depth=3
	s_or_b64 exec, exec, s[42:43]
	s_and_b64 s[42:43], exec, s[38:39]
	s_or_b64 s[36:37], s[42:43], s[36:37]
	s_andn2_b64 s[34:35], s[34:35], exec
	s_and_b64 s[42:43], s[40:41], exec
	s_or_b64 s[34:35], s[34:35], s[42:43]
	s_andn2_b64 exec, exec, s[36:37]
	s_cbranch_execz .LBB2_60
.LBB2_51:                               ;   Parent Loop BB2_36 Depth=1
                                        ;     Parent Loop BB2_42 Depth=2
                                        ; =>    This Inner Loop Header: Depth=3
	v_and_b32_e32 v18, 63, v19
	v_lshl_add_u32 v20, v18, 2, v5
	ds_read_b32 v20, v20
	s_or_b64 s[40:41], s[40:41], exec
	s_or_b64 s[38:39], s[38:39], exec
	s_waitcnt lgkmcnt(0)
	v_cmp_ne_u32_e32 vcc, -1, v20
	s_and_saveexec_b64 s[42:43], vcc
	s_cbranch_execz .LBB2_50
; %bb.52:                               ;   in Loop: Header=BB2_51 Depth=3
	v_cmp_ne_u32_e32 vcc, v20, v10
	s_mov_b64 s[46:47], -1
	s_mov_b64 s[48:49], 0
	s_and_saveexec_b64 s[44:45], vcc
	s_cbranch_execz .LBB2_49
; %bb.53:                               ;   in Loop: Header=BB2_51 Depth=3
	v_add_u32_e32 v18, 1, v19
	v_and_b32_e32 v18, 63, v18
	v_lshl_add_u32 v20, v18, 2, v5
	ds_read_b32 v20, v20
	s_mov_b64 s[50:51], -1
	s_mov_b64 s[48:49], -1
	s_waitcnt lgkmcnt(0)
	v_cmp_ne_u32_e32 vcc, -1, v20
	s_and_saveexec_b64 s[46:47], vcc
	s_cbranch_execz .LBB2_48
; %bb.54:                               ;   in Loop: Header=BB2_51 Depth=3
	v_cmp_ne_u32_e32 vcc, v20, v10
	s_mov_b64 s[54:55], 0
	s_and_saveexec_b64 s[48:49], vcc
	s_cbranch_execz .LBB2_47
; %bb.55:                               ;   in Loop: Header=BB2_51 Depth=3
	v_add_u32_e32 v18, 2, v19
	v_and_b32_e32 v18, 63, v18
	v_lshl_add_u32 v20, v18, 2, v5
	ds_read_b32 v20, v20
	s_mov_b64 s[52:53], -1
	s_mov_b64 s[56:57], -1
	s_waitcnt lgkmcnt(0)
	v_cmp_ne_u32_e32 vcc, -1, v20
	s_and_saveexec_b64 s[50:51], vcc
	s_cbranch_execz .LBB2_46
; %bb.56:                               ;   in Loop: Header=BB2_51 Depth=3
	v_cmp_ne_u32_e32 vcc, v20, v10
	s_mov_b64 s[54:55], -1
	s_mov_b64 s[56:57], 0
	s_and_saveexec_b64 s[52:53], vcc
	s_cbranch_execz .LBB2_45
; %bb.57:                               ;   in Loop: Header=BB2_51 Depth=3
	v_add_u32_e32 v18, 3, v19
	v_and_b32_e32 v18, 63, v18
	v_lshl_add_u32 v19, v18, 2, v5
	ds_read_b32 v20, v19
	s_mov_b64 s[58:59], -1
	s_mov_b64 s[56:57], -1
                                        ; implicit-def: $vgpr19
	s_waitcnt lgkmcnt(0)
	v_cmp_ne_u32_e32 vcc, -1, v20
	s_and_saveexec_b64 s[54:55], vcc
	s_cbranch_execz .LBB2_44
; %bb.58:                               ;   in Loop: Header=BB2_51 Depth=3
	v_cmp_ne_u32_e32 vcc, v20, v10
	s_mov_b64 s[56:57], 0
                                        ; implicit-def: $vgpr19
	s_and_saveexec_b64 s[60:61], vcc
	s_cbranch_execz .LBB2_43
; %bb.59:                               ;   in Loop: Header=BB2_51 Depth=3
	v_add_u32_e32 v17, -4, v17
	v_cmp_eq_u32_e32 vcc, 0, v17
	s_mov_b64 s[56:57], exec
	v_add_u32_e32 v19, 1, v18
	s_orn2_b64 s[58:59], vcc, exec
	s_branch .LBB2_43
.LBB2_60:                               ;   in Loop: Header=BB2_42 Depth=2
	s_or_b64 exec, exec, s[36:37]
	s_xor_b64 s[34:35], s[34:35], -1
	s_and_saveexec_b64 s[36:37], s[34:35]
	s_xor_b64 s[34:35], exec, s[36:37]
	s_cbranch_execz .LBB2_41
; %bb.61:                               ;   in Loop: Header=BB2_42 Depth=2
	v_lshl_add_u32 v10, v18, 2, v15
	ds_read_b32 v18, v10
	v_lshl_add_u64 v[20:21], v[8:9], 2, s[8:9]
	s_waitcnt lgkmcnt(0)
	v_ashrrev_i32_e32 v19, 31, v18
	v_lshl_add_u64 v[18:19], v[18:19], 2, s[8:9]
	global_load_dword v9, v[20:21], off
	global_load_dword v10, v[18:19], off
	s_waitcnt vmcnt(0)
	v_fma_f32 v9, -v11, v9, v10
	global_store_dword v[18:19], v9, off
	s_branch .LBB2_41
.LBB2_62:
	s_or_b64 exec, exec, s[2:3]
	v_cmp_lt_i32_e32 vcc, -1, v4
	s_and_saveexec_b64 s[6:7], vcc
	s_cbranch_execz .LBB2_78
; %bb.63:
	v_mov_b32_e32 v5, 0
	v_lshl_add_u64 v[6:7], v[4:5], 2, s[8:9]
	global_load_dword v8, v[6:7], off
	v_cmp_eq_u32_e64 s[2:3], 0, v12
	s_andn2_b64 vcc, exec, s[30:31]
	s_waitcnt vmcnt(0)
	v_cmp_gt_f32_e64 s[4:5], 0, v8
	s_nop 1
	v_cndmask_b32_e64 v4, v8, -v8, s[4:5]
	v_cvt_f64_f32_e32 v[4:5], v4
	s_mov_b64 s[4:5], -1
	s_cbranch_vccnz .LBB2_67
; %bb.64:
	s_cmp_eq_u64 s[20:21], 8
	v_cvt_f64_f32_e32 v[10:11], v13
	s_cselect_b64 vcc, -1, 0
	v_cndmask_b32_e32 v3, v11, v3, vcc
	v_cndmask_b32_e32 v2, v10, v2, vcc
	v_cmp_ge_f64_e32 vcc, v[2:3], v[4:5]
	s_and_b64 s[8:9], s[2:3], vcc
	s_and_saveexec_b64 s[4:5], s[8:9]
	s_cbranch_execz .LBB2_66
; %bb.65:
	global_store_dword v[6:7], v14, off
	buffer_wbl2 sc1
	s_waitcnt vmcnt(0)
	buffer_inv sc1
.LBB2_66:
	s_or_b64 exec, exec, s[4:5]
	s_mov_b64 s[4:5], 0
.LBB2_67:
	s_andn2_b64 vcc, exec, s[4:5]
	s_cbranch_vccnz .LBB2_78
; %bb.68:
	s_load_dwordx2 s[0:1], s[0:1], 0x48
	v_add_u32_e32 v2, s28, v0
	s_waitcnt lgkmcnt(0)
	v_cmp_ge_f64_e32 vcc, s[0:1], v[4:5]
	s_and_b64 s[4:5], s[2:3], vcc
	s_and_saveexec_b64 s[0:1], s[4:5]
	s_cbranch_execz .LBB2_73
; %bb.69:
	s_mov_b64 s[4:5], exec
	s_brev_b32 s8, -2
.LBB2_70:                               ; =>This Inner Loop Header: Depth=1
	s_ff1_i32_b64 s9, s[4:5]
	v_readlane_b32 s14, v2, s9
	s_lshl_b64 s[10:11], 1, s9
	s_min_i32 s8, s8, s14
	s_andn2_b64 s[4:5], s[4:5], s[10:11]
	s_cmp_lg_u64 s[4:5], 0
	s_cbranch_scc1 .LBB2_70
; %bb.71:
	v_mbcnt_lo_u32_b32 v3, exec_lo, 0
	v_mbcnt_hi_u32_b32 v3, exec_hi, v3
	v_cmp_eq_u32_e32 vcc, 0, v3
	s_and_saveexec_b64 s[4:5], vcc
	s_xor_b64 s[4:5], exec, s[4:5]
	s_cbranch_execz .LBB2_73
; %bb.72:
	v_mov_b32_e32 v3, 0
	v_mov_b32_e32 v4, s8
	global_atomic_smin v3, v4, s[18:19]
.LBB2_73:
	s_or_b64 exec, exec, s[0:1]
	v_cmp_eq_f32_e32 vcc, 0, v8
	s_and_b64 s[0:1], s[2:3], vcc
	s_and_b64 exec, exec, s[0:1]
	s_cbranch_execz .LBB2_78
; %bb.74:
	s_mov_b64 s[0:1], exec
	s_brev_b32 s2, -2
.LBB2_75:                               ; =>This Inner Loop Header: Depth=1
	s_ff1_i32_b64 s3, s[0:1]
	v_readlane_b32 s8, v2, s3
	s_lshl_b64 s[4:5], 1, s3
	s_min_i32 s2, s2, s8
	s_andn2_b64 s[0:1], s[0:1], s[4:5]
	s_cmp_lg_u64 s[0:1], 0
	s_cbranch_scc1 .LBB2_75
; %bb.76:
	v_mbcnt_lo_u32_b32 v2, exec_lo, 0
	v_mbcnt_hi_u32_b32 v2, exec_hi, v2
	v_cmp_eq_u32_e32 vcc, 0, v2
	s_and_saveexec_b64 s[0:1], vcc
	s_xor_b64 s[0:1], exec, s[0:1]
	s_cbranch_execz .LBB2_78
; %bb.77:
	v_mov_b32_e32 v2, 0
	v_mov_b32_e32 v3, s2
	global_atomic_smin v2, v3, s[16:17]
.LBB2_78:
	s_or_b64 exec, exec, s[6:7]
	v_cmp_eq_u32_e32 vcc, 0, v12
	buffer_wbl2 sc1
	s_waitcnt vmcnt(0)
	buffer_inv sc1
	s_and_b64 exec, exec, vcc
	s_cbranch_execz .LBB2_80
; %bb.79:
	v_lshl_add_u64 v[0:1], v[0:1], 2, s[12:13]
	v_mov_b32_e32 v2, 1
	buffer_wbl2 sc1
	global_store_dword v[0:1], v2, off sc1
.LBB2_80:
	s_endpgm
	.section	.rodata,"a",@progbits
	.p2align	6, 0x0
	.amdhsa_kernel _ZN9rocsparseL12csrilu0_hashILj256ELj32ELj2EfEEviPKiS2_PT2_S2_PiS2_S5_S5_d21rocsparse_index_base_imNS_24const_host_device_scalarIfEENS7_IdEENS7_IS3_EEb
		.amdhsa_group_segment_fixed_size 4096
		.amdhsa_private_segment_fixed_size 0
		.amdhsa_kernarg_size 124
		.amdhsa_user_sgpr_count 2
		.amdhsa_user_sgpr_dispatch_ptr 0
		.amdhsa_user_sgpr_queue_ptr 0
		.amdhsa_user_sgpr_kernarg_segment_ptr 1
		.amdhsa_user_sgpr_dispatch_id 0
		.amdhsa_user_sgpr_kernarg_preload_length 0
		.amdhsa_user_sgpr_kernarg_preload_offset 0
		.amdhsa_user_sgpr_private_segment_size 0
		.amdhsa_uses_dynamic_stack 0
		.amdhsa_enable_private_segment 0
		.amdhsa_system_sgpr_workgroup_id_x 1
		.amdhsa_system_sgpr_workgroup_id_y 0
		.amdhsa_system_sgpr_workgroup_id_z 0
		.amdhsa_system_sgpr_workgroup_info 0
		.amdhsa_system_vgpr_workitem_id 0
		.amdhsa_next_free_vgpr 24
		.amdhsa_next_free_sgpr 62
		.amdhsa_accum_offset 24
		.amdhsa_reserve_vcc 1
		.amdhsa_float_round_mode_32 0
		.amdhsa_float_round_mode_16_64 0
		.amdhsa_float_denorm_mode_32 3
		.amdhsa_float_denorm_mode_16_64 3
		.amdhsa_dx10_clamp 1
		.amdhsa_ieee_mode 1
		.amdhsa_fp16_overflow 0
		.amdhsa_tg_split 0
		.amdhsa_exception_fp_ieee_invalid_op 0
		.amdhsa_exception_fp_denorm_src 0
		.amdhsa_exception_fp_ieee_div_zero 0
		.amdhsa_exception_fp_ieee_overflow 0
		.amdhsa_exception_fp_ieee_underflow 0
		.amdhsa_exception_fp_ieee_inexact 0
		.amdhsa_exception_int_div_zero 0
	.end_amdhsa_kernel
	.section	.text._ZN9rocsparseL12csrilu0_hashILj256ELj32ELj2EfEEviPKiS2_PT2_S2_PiS2_S5_S5_d21rocsparse_index_base_imNS_24const_host_device_scalarIfEENS7_IdEENS7_IS3_EEb,"axG",@progbits,_ZN9rocsparseL12csrilu0_hashILj256ELj32ELj2EfEEviPKiS2_PT2_S2_PiS2_S5_S5_d21rocsparse_index_base_imNS_24const_host_device_scalarIfEENS7_IdEENS7_IS3_EEb,comdat
.Lfunc_end2:
	.size	_ZN9rocsparseL12csrilu0_hashILj256ELj32ELj2EfEEviPKiS2_PT2_S2_PiS2_S5_S5_d21rocsparse_index_base_imNS_24const_host_device_scalarIfEENS7_IdEENS7_IS3_EEb, .Lfunc_end2-_ZN9rocsparseL12csrilu0_hashILj256ELj32ELj2EfEEviPKiS2_PT2_S2_PiS2_S5_S5_d21rocsparse_index_base_imNS_24const_host_device_scalarIfEENS7_IdEENS7_IS3_EEb
                                        ; -- End function
	.set _ZN9rocsparseL12csrilu0_hashILj256ELj32ELj2EfEEviPKiS2_PT2_S2_PiS2_S5_S5_d21rocsparse_index_base_imNS_24const_host_device_scalarIfEENS7_IdEENS7_IS3_EEb.num_vgpr, 24
	.set _ZN9rocsparseL12csrilu0_hashILj256ELj32ELj2EfEEviPKiS2_PT2_S2_PiS2_S5_S5_d21rocsparse_index_base_imNS_24const_host_device_scalarIfEENS7_IdEENS7_IS3_EEb.num_agpr, 0
	.set _ZN9rocsparseL12csrilu0_hashILj256ELj32ELj2EfEEviPKiS2_PT2_S2_PiS2_S5_S5_d21rocsparse_index_base_imNS_24const_host_device_scalarIfEENS7_IdEENS7_IS3_EEb.numbered_sgpr, 62
	.set _ZN9rocsparseL12csrilu0_hashILj256ELj32ELj2EfEEviPKiS2_PT2_S2_PiS2_S5_S5_d21rocsparse_index_base_imNS_24const_host_device_scalarIfEENS7_IdEENS7_IS3_EEb.num_named_barrier, 0
	.set _ZN9rocsparseL12csrilu0_hashILj256ELj32ELj2EfEEviPKiS2_PT2_S2_PiS2_S5_S5_d21rocsparse_index_base_imNS_24const_host_device_scalarIfEENS7_IdEENS7_IS3_EEb.private_seg_size, 0
	.set _ZN9rocsparseL12csrilu0_hashILj256ELj32ELj2EfEEviPKiS2_PT2_S2_PiS2_S5_S5_d21rocsparse_index_base_imNS_24const_host_device_scalarIfEENS7_IdEENS7_IS3_EEb.uses_vcc, 1
	.set _ZN9rocsparseL12csrilu0_hashILj256ELj32ELj2EfEEviPKiS2_PT2_S2_PiS2_S5_S5_d21rocsparse_index_base_imNS_24const_host_device_scalarIfEENS7_IdEENS7_IS3_EEb.uses_flat_scratch, 0
	.set _ZN9rocsparseL12csrilu0_hashILj256ELj32ELj2EfEEviPKiS2_PT2_S2_PiS2_S5_S5_d21rocsparse_index_base_imNS_24const_host_device_scalarIfEENS7_IdEENS7_IS3_EEb.has_dyn_sized_stack, 0
	.set _ZN9rocsparseL12csrilu0_hashILj256ELj32ELj2EfEEviPKiS2_PT2_S2_PiS2_S5_S5_d21rocsparse_index_base_imNS_24const_host_device_scalarIfEENS7_IdEENS7_IS3_EEb.has_recursion, 0
	.set _ZN9rocsparseL12csrilu0_hashILj256ELj32ELj2EfEEviPKiS2_PT2_S2_PiS2_S5_S5_d21rocsparse_index_base_imNS_24const_host_device_scalarIfEENS7_IdEENS7_IS3_EEb.has_indirect_call, 0
	.section	.AMDGPU.csdata,"",@progbits
; Kernel info:
; codeLenInByte = 2408
; TotalNumSgprs: 68
; NumVgprs: 24
; NumAgprs: 0
; TotalNumVgprs: 24
; ScratchSize: 0
; MemoryBound: 0
; FloatMode: 240
; IeeeMode: 1
; LDSByteSize: 4096 bytes/workgroup (compile time only)
; SGPRBlocks: 8
; VGPRBlocks: 2
; NumSGPRsForWavesPerEU: 68
; NumVGPRsForWavesPerEU: 24
; AccumOffset: 24
; Occupancy: 8
; WaveLimiterHint : 1
; COMPUTE_PGM_RSRC2:SCRATCH_EN: 0
; COMPUTE_PGM_RSRC2:USER_SGPR: 2
; COMPUTE_PGM_RSRC2:TRAP_HANDLER: 0
; COMPUTE_PGM_RSRC2:TGID_X_EN: 1
; COMPUTE_PGM_RSRC2:TGID_Y_EN: 0
; COMPUTE_PGM_RSRC2:TGID_Z_EN: 0
; COMPUTE_PGM_RSRC2:TIDIG_COMP_CNT: 0
; COMPUTE_PGM_RSRC3_GFX90A:ACCUM_OFFSET: 5
; COMPUTE_PGM_RSRC3_GFX90A:TG_SPLIT: 0
	.section	.text._ZN9rocsparseL12csrilu0_hashILj256ELj32ELj4EfEEviPKiS2_PT2_S2_PiS2_S5_S5_d21rocsparse_index_base_imNS_24const_host_device_scalarIfEENS7_IdEENS7_IS3_EEb,"axG",@progbits,_ZN9rocsparseL12csrilu0_hashILj256ELj32ELj4EfEEviPKiS2_PT2_S2_PiS2_S5_S5_d21rocsparse_index_base_imNS_24const_host_device_scalarIfEENS7_IdEENS7_IS3_EEb,comdat
	.globl	_ZN9rocsparseL12csrilu0_hashILj256ELj32ELj4EfEEviPKiS2_PT2_S2_PiS2_S5_S5_d21rocsparse_index_base_imNS_24const_host_device_scalarIfEENS7_IdEENS7_IS3_EEb ; -- Begin function _ZN9rocsparseL12csrilu0_hashILj256ELj32ELj4EfEEviPKiS2_PT2_S2_PiS2_S5_S5_d21rocsparse_index_base_imNS_24const_host_device_scalarIfEENS7_IdEENS7_IS3_EEb
	.p2align	8
	.type	_ZN9rocsparseL12csrilu0_hashILj256ELj32ELj4EfEEviPKiS2_PT2_S2_PiS2_S5_S5_d21rocsparse_index_base_imNS_24const_host_device_scalarIfEENS7_IdEENS7_IS3_EEb,@function
_ZN9rocsparseL12csrilu0_hashILj256ELj32ELj4EfEEviPKiS2_PT2_S2_PiS2_S5_S5_d21rocsparse_index_base_imNS_24const_host_device_scalarIfEENS7_IdEENS7_IS3_EEb: ; @_ZN9rocsparseL12csrilu0_hashILj256ELj32ELj4EfEEviPKiS2_PT2_S2_PiS2_S5_S5_d21rocsparse_index_base_imNS_24const_host_device_scalarIfEENS7_IdEENS7_IS3_EEb
; %bb.0:
	s_load_dword s3, s[0:1], 0x78
	s_load_dwordx2 s[28:29], s[0:1], 0x50
	s_load_dwordx8 s[20:27], s[0:1], 0x58
	s_waitcnt lgkmcnt(0)
	s_bitcmp1_b32 s3, 0
	s_cselect_b64 s[4:5], -1, 0
	s_cmp_eq_u32 s29, 0
	s_cselect_b64 s[6:7], -1, 0
	s_cmp_lg_u32 s29, 0
	s_cselect_b64 s[30:31], -1, 0
	s_or_b64 s[4:5], s[6:7], s[4:5]
	s_xor_b64 s[8:9], s[4:5], -1
	s_and_b64 s[10:11], s[6:7], exec
	s_cselect_b32 s11, 0, s25
	s_cselect_b32 s10, 0, s24
	s_and_b64 vcc, exec, s[4:5]
	s_cbranch_vccnz .LBB3_2
; %bb.1:
	s_load_dword s3, s[22:23], 0x0
	s_mov_b64 s[10:11], s[24:25]
	s_waitcnt lgkmcnt(0)
	v_mov_b32_e32 v13, s3
	s_branch .LBB3_3
.LBB3_2:
	v_mov_b32_e32 v1, s22
	v_cndmask_b32_e64 v13, v1, 0, s[6:7]
.LBB3_3:
	v_cndmask_b32_e64 v1, 0, 1, s[8:9]
	v_cmp_ne_u32_e64 s[4:5], 1, v1
	s_andn2_b64 vcc, exec, s[8:9]
	v_mov_b64_e32 v[2:3], s[10:11]
	s_cbranch_vccnz .LBB3_5
; %bb.4:
	v_mov_b64_e32 v[2:3], s[24:25]
	flat_load_dwordx2 v[2:3], v[2:3]
.LBB3_5:
	s_and_b64 vcc, exec, s[4:5]
	s_cbranch_vccnz .LBB3_7
; %bb.6:
	s_load_dword s3, s[26:27], 0x0
	s_waitcnt lgkmcnt(0)
	v_mov_b32_e32 v14, s3
	s_branch .LBB3_8
.LBB3_7:
	v_mov_b32_e32 v1, s26
	v_cndmask_b32_e64 v14, v1, 0, s[6:7]
.LBB3_8:
	s_load_dword s3, s[0:1], 0x0
	v_lshlrev_b32_e32 v1, 2, v0
	s_lshl_b32 s2, s2, 3
	v_and_b32_e32 v12, 31, v0
	v_and_b32_e32 v6, 0x380, v1
	v_mov_b32_e32 v1, 0x1000
	v_lshrrev_b32_e32 v0, 5, v0
	s_and_b32 s2, s2, 0x7fffff8
	v_lshl_or_b32 v5, v6, 2, v1
	v_or_b32_e32 v0, s2, v0
	v_lshl_or_b32 v1, v12, 2, v5
	v_mov_b32_e32 v4, -1
	s_waitcnt lgkmcnt(0)
	v_cmp_gt_i32_e32 vcc, s3, v0
	ds_write2_b32 v1, v4, v4 offset1:32
	ds_write2_b32 v1, v4, v4 offset0:64 offset1:96
	s_waitcnt lgkmcnt(0)
	s_and_saveexec_b64 s[2:3], vcc
	s_cbranch_execz .LBB3_80
; %bb.9:
	s_load_dwordx16 s[4:19], s[0:1], 0x8
	v_lshlrev_b32_e32 v0, 2, v0
	v_lshlrev_b32_e32 v15, 2, v6
	s_waitcnt lgkmcnt(0)
	global_load_dword v0, v0, s[14:15]
	s_waitcnt vmcnt(0)
	v_ashrrev_i32_e32 v1, 31, v0
	v_lshlrev_b64 v[8:9], 2, v[0:1]
	v_lshl_add_u64 v[10:11], s[4:5], 0, v[8:9]
	global_load_dwordx2 v[10:11], v[10:11], off
	v_lshl_add_u64 v[8:9], s[10:11], 0, v[8:9]
	global_load_dword v4, v[8:9], off
	s_waitcnt vmcnt(1)
	v_subrev_u32_e32 v6, s28, v10
	v_subrev_u32_e32 v7, s28, v11
	v_add_u32_e32 v8, v6, v12
	v_cmp_lt_i32_e32 vcc, v8, v7
	s_and_saveexec_b64 s[2:3], vcc
	s_cbranch_execz .LBB3_32
; %bb.10:
	s_mov_b64 s[14:15], 0
	s_movk_i32 s29, 0x67
	v_mov_b32_e32 v10, -1
	s_branch .LBB3_12
.LBB3_11:                               ;   in Loop: Header=BB3_12 Depth=1
	s_or_b64 exec, exec, s[22:23]
	v_add_u32_e32 v8, 32, v8
	v_cmp_ge_i32_e32 vcc, v8, v7
	s_or_b64 s[14:15], vcc, s[14:15]
	s_andn2_b64 exec, exec, s[14:15]
	s_cbranch_execz .LBB3_32
.LBB3_12:                               ; =>This Loop Header: Depth=1
                                        ;     Child Loop BB3_21 Depth 2
	v_ashrrev_i32_e32 v9, 31, v8
	v_lshl_add_u64 v[16:17], v[8:9], 2, s[6:7]
	global_load_dword v9, v[16:17], off
	v_mov_b32_e32 v11, 0x80
	s_mov_b64 s[24:25], 0
                                        ; implicit-def: $sgpr22_sgpr23
                                        ; implicit-def: $sgpr26_sgpr27
                                        ; implicit-def: $sgpr34_sgpr35
	s_waitcnt vmcnt(0)
	v_mul_lo_u32 v17, v9, s29
	s_branch .LBB3_21
.LBB3_13:                               ;   in Loop: Header=BB3_21 Depth=2
	s_or_b64 exec, exec, s[54:55]
	s_orn2_b64 s[50:51], s[50:51], exec
	s_orn2_b64 s[52:53], s[52:53], exec
.LBB3_14:                               ;   in Loop: Header=BB3_21 Depth=2
	s_or_b64 exec, exec, s[48:49]
	s_and_b64 s[50:51], s[50:51], exec
	s_orn2_b64 s[48:49], s[52:53], exec
.LBB3_15:                               ;   in Loop: Header=BB3_21 Depth=2
	s_or_b64 exec, exec, s[46:47]
	s_orn2_b64 s[50:51], s[50:51], exec
	s_orn2_b64 s[46:47], s[48:49], exec
.LBB3_16:                               ;   in Loop: Header=BB3_21 Depth=2
	s_or_b64 exec, exec, s[44:45]
	s_and_b64 s[48:49], s[50:51], exec
	s_orn2_b64 s[44:45], s[46:47], exec
.LBB3_17:                               ;   in Loop: Header=BB3_21 Depth=2
	s_or_b64 exec, exec, s[42:43]
	s_orn2_b64 s[42:43], s[48:49], exec
	s_orn2_b64 s[44:45], s[44:45], exec
.LBB3_18:                               ;   in Loop: Header=BB3_21 Depth=2
	s_or_b64 exec, exec, s[40:41]
	s_and_b64 s[42:43], s[42:43], exec
	s_orn2_b64 s[40:41], s[44:45], exec
.LBB3_19:                               ;   in Loop: Header=BB3_21 Depth=2
	s_or_b64 exec, exec, s[38:39]
	s_andn2_b64 s[34:35], s[34:35], exec
	s_and_b64 s[38:39], s[42:43], exec
	s_or_b64 s[34:35], s[34:35], s[38:39]
	s_andn2_b64 s[26:27], s[26:27], exec
	s_and_b64 s[38:39], s[40:41], exec
	s_or_b64 s[26:27], s[26:27], s[38:39]
.LBB3_20:                               ;   in Loop: Header=BB3_21 Depth=2
	s_or_b64 exec, exec, s[36:37]
	s_and_b64 s[36:37], exec, s[26:27]
	s_or_b64 s[24:25], s[36:37], s[24:25]
	s_andn2_b64 s[22:23], s[22:23], exec
	s_and_b64 s[36:37], s[34:35], exec
	s_or_b64 s[22:23], s[22:23], s[36:37]
	s_andn2_b64 exec, exec, s[24:25]
	s_cbranch_execz .LBB3_30
.LBB3_21:                               ;   Parent Loop BB3_12 Depth=1
                                        ; =>  This Inner Loop Header: Depth=2
	v_and_b32_e32 v16, 0x7f, v17
	v_lshl_add_u32 v18, v16, 2, v5
	ds_read_b32 v19, v18
	s_or_b64 s[34:35], s[34:35], exec
	s_or_b64 s[26:27], s[26:27], exec
	s_waitcnt lgkmcnt(0)
	v_cmp_ne_u32_e32 vcc, v19, v9
	s_and_saveexec_b64 s[36:37], vcc
	s_cbranch_execz .LBB3_20
; %bb.22:                               ;   in Loop: Header=BB3_21 Depth=2
	ds_cmpst_rtn_b32 v18, v18, v10, v9
	s_mov_b64 s[40:41], -1
	s_mov_b64 s[42:43], 0
	s_waitcnt lgkmcnt(0)
	v_cmp_ne_u32_e32 vcc, -1, v18
	s_and_saveexec_b64 s[38:39], vcc
	s_cbranch_execz .LBB3_19
; %bb.23:                               ;   in Loop: Header=BB3_21 Depth=2
	v_add_u32_e32 v16, 1, v17
	v_and_b32_e32 v16, 0x7f, v16
	v_lshl_add_u32 v18, v16, 2, v5
	ds_read_b32 v19, v18
	s_mov_b64 s[44:45], -1
	s_mov_b64 s[42:43], -1
	s_waitcnt lgkmcnt(0)
	v_cmp_ne_u32_e32 vcc, v19, v9
	s_and_saveexec_b64 s[40:41], vcc
	s_cbranch_execz .LBB3_18
; %bb.24:                               ;   in Loop: Header=BB3_21 Depth=2
	ds_cmpst_rtn_b32 v18, v18, v10, v9
	s_mov_b64 s[48:49], 0
	s_waitcnt lgkmcnt(0)
	v_cmp_ne_u32_e32 vcc, -1, v18
	s_and_saveexec_b64 s[42:43], vcc
	s_cbranch_execz .LBB3_17
; %bb.25:                               ;   in Loop: Header=BB3_21 Depth=2
	v_add_u32_e32 v16, 2, v17
	v_and_b32_e32 v16, 0x7f, v16
	v_lshl_add_u32 v18, v16, 2, v5
	ds_read_b32 v19, v18
	s_mov_b64 s[46:47], -1
	s_mov_b64 s[50:51], -1
	s_waitcnt lgkmcnt(0)
	v_cmp_ne_u32_e32 vcc, v19, v9
	s_and_saveexec_b64 s[44:45], vcc
	s_cbranch_execz .LBB3_16
; %bb.26:                               ;   in Loop: Header=BB3_21 Depth=2
	ds_cmpst_rtn_b32 v18, v18, v10, v9
	s_mov_b64 s[48:49], -1
	s_mov_b64 s[50:51], 0
	s_waitcnt lgkmcnt(0)
	v_cmp_ne_u32_e32 vcc, -1, v18
	s_and_saveexec_b64 s[46:47], vcc
	s_cbranch_execz .LBB3_15
; %bb.27:                               ;   in Loop: Header=BB3_21 Depth=2
	v_add_u32_e32 v16, 3, v17
	v_and_b32_e32 v16, 0x7f, v16
	v_lshl_add_u32 v18, v16, 2, v5
	ds_read_b32 v17, v18
	s_mov_b64 s[52:53], -1
	s_mov_b64 s[50:51], -1
	s_waitcnt lgkmcnt(0)
	v_cmp_ne_u32_e32 vcc, v17, v9
                                        ; implicit-def: $vgpr17
	s_and_saveexec_b64 s[48:49], vcc
	s_cbranch_execz .LBB3_14
; %bb.28:                               ;   in Loop: Header=BB3_21 Depth=2
	ds_cmpst_rtn_b32 v17, v18, v10, v9
	s_mov_b64 s[50:51], 0
	s_waitcnt lgkmcnt(0)
	v_cmp_ne_u32_e32 vcc, -1, v17
                                        ; implicit-def: $vgpr17
	s_and_saveexec_b64 s[54:55], vcc
	s_cbranch_execz .LBB3_13
; %bb.29:                               ;   in Loop: Header=BB3_21 Depth=2
	v_add_u32_e32 v11, -4, v11
	v_cmp_eq_u32_e32 vcc, 0, v11
	s_mov_b64 s[50:51], exec
	v_add_u32_e32 v17, 1, v16
	s_orn2_b64 s[52:53], vcc, exec
	s_branch .LBB3_13
.LBB3_30:                               ;   in Loop: Header=BB3_12 Depth=1
	s_or_b64 exec, exec, s[24:25]
	s_xor_b64 s[22:23], s[22:23], -1
	s_and_saveexec_b64 s[24:25], s[22:23]
	s_xor_b64 s[22:23], exec, s[24:25]
	s_cbranch_execz .LBB3_11
; %bb.31:                               ;   in Loop: Header=BB3_12 Depth=1
	v_lshl_add_u32 v9, v16, 2, v15
	ds_write_b32 v9, v8
	s_branch .LBB3_11
.LBB3_32:
	s_or_b64 exec, exec, s[2:3]
	s_waitcnt vmcnt(0)
	v_cmp_lt_i32_e32 vcc, v6, v4
	s_waitcnt lgkmcnt(0)
	s_and_saveexec_b64 s[2:3], vcc
	s_cbranch_execz .LBB3_62
; %bb.33:
	v_add_u32_e32 v16, 1, v12
	s_mov_b64 s[14:15], 0
	s_movk_i32 s29, 0x67
	s_branch .LBB3_36
.LBB3_34:                               ;   in Loop: Header=BB3_36 Depth=1
	s_or_b64 exec, exec, s[24:25]
	v_add_u32_e32 v6, 1, v6
	v_cmp_ge_i32_e32 vcc, v6, v4
	s_orn2_b64 s[24:25], vcc, exec
.LBB3_35:                               ;   in Loop: Header=BB3_36 Depth=1
	s_or_b64 exec, exec, s[22:23]
	s_and_b64 s[22:23], exec, s[24:25]
	s_or_b64 s[14:15], s[22:23], s[14:15]
	s_andn2_b64 exec, exec, s[14:15]
	s_cbranch_execz .LBB3_62
.LBB3_36:                               ; =>This Loop Header: Depth=1
                                        ;     Child Loop BB3_37 Depth 2
                                        ;     Child Loop BB3_42 Depth 2
                                        ;       Child Loop BB3_51 Depth 3
	v_ashrrev_i32_e32 v7, 31, v6
	v_lshlrev_b64 v[8:9], 2, v[6:7]
	v_lshl_add_u64 v[10:11], s[6:7], 0, v[8:9]
	global_load_dword v7, v[10:11], off
	v_lshl_add_u64 v[8:9], s[8:9], 0, v[8:9]
	global_load_dword v17, v[8:9], off
	s_mov_b64 s[22:23], 0
	s_waitcnt vmcnt(1)
	v_subrev_u32_e32 v10, s28, v7
	v_ashrrev_i32_e32 v11, 31, v10
	v_lshlrev_b64 v[10:11], 2, v[10:11]
	v_lshl_add_u64 v[20:21], s[4:5], 0, v[10:11]
	v_lshl_add_u64 v[22:23], s[10:11], 0, v[10:11]
	global_load_dword v7, v[20:21], off offset:4
	global_load_dword v18, v[22:23], off
	v_lshl_add_u64 v[10:11], s[12:13], 0, v[10:11]
.LBB3_37:                               ;   Parent Loop BB3_36 Depth=1
                                        ; =>  This Inner Loop Header: Depth=2
	global_load_dword v19, v[10:11], off sc1
	s_waitcnt vmcnt(0)
	v_cmp_ne_u32_e32 vcc, 0, v19
	s_or_b64 s[22:23], vcc, s[22:23]
	s_andn2_b64 exec, exec, s[22:23]
	s_cbranch_execnz .LBB3_37
; %bb.38:                               ;   in Loop: Header=BB3_36 Depth=1
	s_or_b64 exec, exec, s[22:23]
	v_subrev_u32_e32 v7, s28, v7
	v_add_u32_e32 v10, -1, v7
	v_cmp_eq_u32_e32 vcc, -1, v18
	buffer_inv sc1
	s_mov_b64 s[24:25], -1
	v_cndmask_b32_e32 v10, v18, v10, vcc
	v_ashrrev_i32_e32 v11, 31, v10
	v_lshl_add_u64 v[18:19], v[10:11], 2, s[8:9]
	global_load_dword v11, v[18:19], off
	s_waitcnt vmcnt(0)
	v_cmp_neq_f32_e32 vcc, 0, v11
	s_and_saveexec_b64 s[22:23], vcc
	s_cbranch_execz .LBB3_35
; %bb.39:                               ;   in Loop: Header=BB3_36 Depth=1
	v_div_scale_f32 v18, s[24:25], v11, v11, v17
	v_rcp_f32_e32 v19, v18
	v_div_scale_f32 v20, vcc, v17, v11, v17
	v_fma_f32 v21, -v18, v19, 1.0
	v_fmac_f32_e32 v19, v21, v19
	v_mul_f32_e32 v21, v20, v19
	v_fma_f32 v22, -v18, v21, v20
	v_fmac_f32_e32 v21, v22, v19
	v_fma_f32 v18, -v18, v21, v20
	v_div_fmas_f32 v18, v18, v19, v21
	v_div_fixup_f32 v11, v18, v11, v17
	global_store_dword v[8:9], v11, off
	v_add_u32_e32 v8, v16, v10
	v_cmp_lt_i32_e32 vcc, v8, v7
	s_and_saveexec_b64 s[24:25], vcc
	s_cbranch_execz .LBB3_34
; %bb.40:                               ;   in Loop: Header=BB3_36 Depth=1
	s_mov_b64 s[26:27], 0
	s_branch .LBB3_42
.LBB3_41:                               ;   in Loop: Header=BB3_42 Depth=2
	s_or_b64 exec, exec, s[34:35]
	v_add_u32_e32 v8, 32, v8
	v_cmp_ge_i32_e32 vcc, v8, v7
	s_or_b64 s[26:27], vcc, s[26:27]
	s_andn2_b64 exec, exec, s[26:27]
	s_cbranch_execz .LBB3_34
.LBB3_42:                               ;   Parent Loop BB3_36 Depth=1
                                        ; =>  This Loop Header: Depth=2
                                        ;       Child Loop BB3_51 Depth 3
	v_ashrrev_i32_e32 v9, 31, v8
	v_lshl_add_u64 v[18:19], v[8:9], 2, s[6:7]
	global_load_dword v10, v[18:19], off
	v_mov_b32_e32 v17, 0x80
	s_mov_b64 s[36:37], 0
                                        ; implicit-def: $sgpr34_sgpr35
                                        ; implicit-def: $sgpr38_sgpr39
                                        ; implicit-def: $sgpr40_sgpr41
	s_waitcnt vmcnt(0)
	v_mul_lo_u32 v19, v10, s29
	s_branch .LBB3_51
.LBB3_43:                               ;   in Loop: Header=BB3_51 Depth=3
	s_or_b64 exec, exec, s[60:61]
	s_orn2_b64 s[56:57], s[56:57], exec
	s_orn2_b64 s[58:59], s[58:59], exec
.LBB3_44:                               ;   in Loop: Header=BB3_51 Depth=3
	s_or_b64 exec, exec, s[54:55]
	s_and_b64 s[56:57], s[56:57], exec
	s_orn2_b64 s[54:55], s[58:59], exec
.LBB3_45:                               ;   in Loop: Header=BB3_51 Depth=3
	s_or_b64 exec, exec, s[52:53]
	s_orn2_b64 s[56:57], s[56:57], exec
	s_orn2_b64 s[52:53], s[54:55], exec
.LBB3_46:                               ;   in Loop: Header=BB3_51 Depth=3
	s_or_b64 exec, exec, s[50:51]
	s_and_b64 s[54:55], s[56:57], exec
	s_orn2_b64 s[50:51], s[52:53], exec
.LBB3_47:                               ;   in Loop: Header=BB3_51 Depth=3
	s_or_b64 exec, exec, s[48:49]
	s_orn2_b64 s[48:49], s[54:55], exec
	s_orn2_b64 s[50:51], s[50:51], exec
.LBB3_48:                               ;   in Loop: Header=BB3_51 Depth=3
	s_or_b64 exec, exec, s[46:47]
	s_and_b64 s[48:49], s[48:49], exec
	s_orn2_b64 s[46:47], s[50:51], exec
.LBB3_49:                               ;   in Loop: Header=BB3_51 Depth=3
	s_or_b64 exec, exec, s[44:45]
	s_andn2_b64 s[40:41], s[40:41], exec
	s_and_b64 s[44:45], s[48:49], exec
	s_or_b64 s[40:41], s[40:41], s[44:45]
	s_andn2_b64 s[38:39], s[38:39], exec
	s_and_b64 s[44:45], s[46:47], exec
	s_or_b64 s[38:39], s[38:39], s[44:45]
.LBB3_50:                               ;   in Loop: Header=BB3_51 Depth=3
	s_or_b64 exec, exec, s[42:43]
	s_and_b64 s[42:43], exec, s[38:39]
	s_or_b64 s[36:37], s[42:43], s[36:37]
	s_andn2_b64 s[34:35], s[34:35], exec
	s_and_b64 s[42:43], s[40:41], exec
	s_or_b64 s[34:35], s[34:35], s[42:43]
	s_andn2_b64 exec, exec, s[36:37]
	s_cbranch_execz .LBB3_60
.LBB3_51:                               ;   Parent Loop BB3_36 Depth=1
                                        ;     Parent Loop BB3_42 Depth=2
                                        ; =>    This Inner Loop Header: Depth=3
	v_and_b32_e32 v18, 0x7f, v19
	v_lshl_add_u32 v20, v18, 2, v5
	ds_read_b32 v20, v20
	s_or_b64 s[40:41], s[40:41], exec
	s_or_b64 s[38:39], s[38:39], exec
	s_waitcnt lgkmcnt(0)
	v_cmp_ne_u32_e32 vcc, -1, v20
	s_and_saveexec_b64 s[42:43], vcc
	s_cbranch_execz .LBB3_50
; %bb.52:                               ;   in Loop: Header=BB3_51 Depth=3
	v_cmp_ne_u32_e32 vcc, v20, v10
	s_mov_b64 s[46:47], -1
	s_mov_b64 s[48:49], 0
	s_and_saveexec_b64 s[44:45], vcc
	s_cbranch_execz .LBB3_49
; %bb.53:                               ;   in Loop: Header=BB3_51 Depth=3
	v_add_u32_e32 v18, 1, v19
	v_and_b32_e32 v18, 0x7f, v18
	v_lshl_add_u32 v20, v18, 2, v5
	ds_read_b32 v20, v20
	s_mov_b64 s[50:51], -1
	s_mov_b64 s[48:49], -1
	s_waitcnt lgkmcnt(0)
	v_cmp_ne_u32_e32 vcc, -1, v20
	s_and_saveexec_b64 s[46:47], vcc
	s_cbranch_execz .LBB3_48
; %bb.54:                               ;   in Loop: Header=BB3_51 Depth=3
	v_cmp_ne_u32_e32 vcc, v20, v10
	s_mov_b64 s[54:55], 0
	s_and_saveexec_b64 s[48:49], vcc
	s_cbranch_execz .LBB3_47
; %bb.55:                               ;   in Loop: Header=BB3_51 Depth=3
	v_add_u32_e32 v18, 2, v19
	v_and_b32_e32 v18, 0x7f, v18
	v_lshl_add_u32 v20, v18, 2, v5
	ds_read_b32 v20, v20
	s_mov_b64 s[52:53], -1
	s_mov_b64 s[56:57], -1
	s_waitcnt lgkmcnt(0)
	v_cmp_ne_u32_e32 vcc, -1, v20
	s_and_saveexec_b64 s[50:51], vcc
	s_cbranch_execz .LBB3_46
; %bb.56:                               ;   in Loop: Header=BB3_51 Depth=3
	v_cmp_ne_u32_e32 vcc, v20, v10
	s_mov_b64 s[54:55], -1
	s_mov_b64 s[56:57], 0
	s_and_saveexec_b64 s[52:53], vcc
	s_cbranch_execz .LBB3_45
; %bb.57:                               ;   in Loop: Header=BB3_51 Depth=3
	v_add_u32_e32 v18, 3, v19
	v_and_b32_e32 v18, 0x7f, v18
	v_lshl_add_u32 v19, v18, 2, v5
	ds_read_b32 v20, v19
	s_mov_b64 s[58:59], -1
	s_mov_b64 s[56:57], -1
                                        ; implicit-def: $vgpr19
	s_waitcnt lgkmcnt(0)
	v_cmp_ne_u32_e32 vcc, -1, v20
	s_and_saveexec_b64 s[54:55], vcc
	s_cbranch_execz .LBB3_44
; %bb.58:                               ;   in Loop: Header=BB3_51 Depth=3
	v_cmp_ne_u32_e32 vcc, v20, v10
	s_mov_b64 s[56:57], 0
                                        ; implicit-def: $vgpr19
	s_and_saveexec_b64 s[60:61], vcc
	s_cbranch_execz .LBB3_43
; %bb.59:                               ;   in Loop: Header=BB3_51 Depth=3
	v_add_u32_e32 v17, -4, v17
	v_cmp_eq_u32_e32 vcc, 0, v17
	s_mov_b64 s[56:57], exec
	v_add_u32_e32 v19, 1, v18
	s_orn2_b64 s[58:59], vcc, exec
	s_branch .LBB3_43
.LBB3_60:                               ;   in Loop: Header=BB3_42 Depth=2
	s_or_b64 exec, exec, s[36:37]
	s_xor_b64 s[34:35], s[34:35], -1
	s_and_saveexec_b64 s[36:37], s[34:35]
	s_xor_b64 s[34:35], exec, s[36:37]
	s_cbranch_execz .LBB3_41
; %bb.61:                               ;   in Loop: Header=BB3_42 Depth=2
	v_lshl_add_u32 v10, v18, 2, v15
	ds_read_b32 v18, v10
	v_lshl_add_u64 v[20:21], v[8:9], 2, s[8:9]
	s_waitcnt lgkmcnt(0)
	v_ashrrev_i32_e32 v19, 31, v18
	v_lshl_add_u64 v[18:19], v[18:19], 2, s[8:9]
	global_load_dword v9, v[20:21], off
	global_load_dword v10, v[18:19], off
	s_waitcnt vmcnt(0)
	v_fma_f32 v9, -v11, v9, v10
	global_store_dword v[18:19], v9, off
	s_branch .LBB3_41
.LBB3_62:
	s_or_b64 exec, exec, s[2:3]
	v_cmp_lt_i32_e32 vcc, -1, v4
	s_and_saveexec_b64 s[6:7], vcc
	s_cbranch_execz .LBB3_78
; %bb.63:
	v_mov_b32_e32 v5, 0
	v_lshl_add_u64 v[6:7], v[4:5], 2, s[8:9]
	global_load_dword v8, v[6:7], off
	v_cmp_eq_u32_e64 s[2:3], 0, v12
	s_andn2_b64 vcc, exec, s[30:31]
	s_waitcnt vmcnt(0)
	v_cmp_gt_f32_e64 s[4:5], 0, v8
	s_nop 1
	v_cndmask_b32_e64 v4, v8, -v8, s[4:5]
	v_cvt_f64_f32_e32 v[4:5], v4
	s_mov_b64 s[4:5], -1
	s_cbranch_vccnz .LBB3_67
; %bb.64:
	s_cmp_eq_u64 s[20:21], 8
	v_cvt_f64_f32_e32 v[10:11], v13
	s_cselect_b64 vcc, -1, 0
	v_cndmask_b32_e32 v3, v11, v3, vcc
	v_cndmask_b32_e32 v2, v10, v2, vcc
	v_cmp_ge_f64_e32 vcc, v[2:3], v[4:5]
	s_and_b64 s[8:9], s[2:3], vcc
	s_and_saveexec_b64 s[4:5], s[8:9]
	s_cbranch_execz .LBB3_66
; %bb.65:
	global_store_dword v[6:7], v14, off
	buffer_wbl2 sc1
	s_waitcnt vmcnt(0)
	buffer_inv sc1
.LBB3_66:
	s_or_b64 exec, exec, s[4:5]
	s_mov_b64 s[4:5], 0
.LBB3_67:
	s_andn2_b64 vcc, exec, s[4:5]
	s_cbranch_vccnz .LBB3_78
; %bb.68:
	s_load_dwordx2 s[0:1], s[0:1], 0x48
	v_add_u32_e32 v2, s28, v0
	s_waitcnt lgkmcnt(0)
	v_cmp_ge_f64_e32 vcc, s[0:1], v[4:5]
	s_and_b64 s[4:5], s[2:3], vcc
	s_and_saveexec_b64 s[0:1], s[4:5]
	s_cbranch_execz .LBB3_73
; %bb.69:
	s_mov_b64 s[4:5], exec
	s_brev_b32 s8, -2
.LBB3_70:                               ; =>This Inner Loop Header: Depth=1
	s_ff1_i32_b64 s9, s[4:5]
	v_readlane_b32 s14, v2, s9
	s_lshl_b64 s[10:11], 1, s9
	s_min_i32 s8, s8, s14
	s_andn2_b64 s[4:5], s[4:5], s[10:11]
	s_cmp_lg_u64 s[4:5], 0
	s_cbranch_scc1 .LBB3_70
; %bb.71:
	v_mbcnt_lo_u32_b32 v3, exec_lo, 0
	v_mbcnt_hi_u32_b32 v3, exec_hi, v3
	v_cmp_eq_u32_e32 vcc, 0, v3
	s_and_saveexec_b64 s[4:5], vcc
	s_xor_b64 s[4:5], exec, s[4:5]
	s_cbranch_execz .LBB3_73
; %bb.72:
	v_mov_b32_e32 v3, 0
	v_mov_b32_e32 v4, s8
	global_atomic_smin v3, v4, s[18:19]
.LBB3_73:
	s_or_b64 exec, exec, s[0:1]
	v_cmp_eq_f32_e32 vcc, 0, v8
	s_and_b64 s[0:1], s[2:3], vcc
	s_and_b64 exec, exec, s[0:1]
	s_cbranch_execz .LBB3_78
; %bb.74:
	s_mov_b64 s[0:1], exec
	s_brev_b32 s2, -2
.LBB3_75:                               ; =>This Inner Loop Header: Depth=1
	s_ff1_i32_b64 s3, s[0:1]
	v_readlane_b32 s8, v2, s3
	s_lshl_b64 s[4:5], 1, s3
	s_min_i32 s2, s2, s8
	s_andn2_b64 s[0:1], s[0:1], s[4:5]
	s_cmp_lg_u64 s[0:1], 0
	s_cbranch_scc1 .LBB3_75
; %bb.76:
	v_mbcnt_lo_u32_b32 v2, exec_lo, 0
	v_mbcnt_hi_u32_b32 v2, exec_hi, v2
	v_cmp_eq_u32_e32 vcc, 0, v2
	s_and_saveexec_b64 s[0:1], vcc
	s_xor_b64 s[0:1], exec, s[0:1]
	s_cbranch_execz .LBB3_78
; %bb.77:
	v_mov_b32_e32 v2, 0
	v_mov_b32_e32 v3, s2
	global_atomic_smin v2, v3, s[16:17]
.LBB3_78:
	s_or_b64 exec, exec, s[6:7]
	v_cmp_eq_u32_e32 vcc, 0, v12
	buffer_wbl2 sc1
	s_waitcnt vmcnt(0)
	buffer_inv sc1
	s_and_b64 exec, exec, vcc
	s_cbranch_execz .LBB3_80
; %bb.79:
	v_lshl_add_u64 v[0:1], v[0:1], 2, s[12:13]
	v_mov_b32_e32 v2, 1
	buffer_wbl2 sc1
	global_store_dword v[0:1], v2, off sc1
.LBB3_80:
	s_endpgm
	.section	.rodata,"a",@progbits
	.p2align	6, 0x0
	.amdhsa_kernel _ZN9rocsparseL12csrilu0_hashILj256ELj32ELj4EfEEviPKiS2_PT2_S2_PiS2_S5_S5_d21rocsparse_index_base_imNS_24const_host_device_scalarIfEENS7_IdEENS7_IS3_EEb
		.amdhsa_group_segment_fixed_size 8192
		.amdhsa_private_segment_fixed_size 0
		.amdhsa_kernarg_size 124
		.amdhsa_user_sgpr_count 2
		.amdhsa_user_sgpr_dispatch_ptr 0
		.amdhsa_user_sgpr_queue_ptr 0
		.amdhsa_user_sgpr_kernarg_segment_ptr 1
		.amdhsa_user_sgpr_dispatch_id 0
		.amdhsa_user_sgpr_kernarg_preload_length 0
		.amdhsa_user_sgpr_kernarg_preload_offset 0
		.amdhsa_user_sgpr_private_segment_size 0
		.amdhsa_uses_dynamic_stack 0
		.amdhsa_enable_private_segment 0
		.amdhsa_system_sgpr_workgroup_id_x 1
		.amdhsa_system_sgpr_workgroup_id_y 0
		.amdhsa_system_sgpr_workgroup_id_z 0
		.amdhsa_system_sgpr_workgroup_info 0
		.amdhsa_system_vgpr_workitem_id 0
		.amdhsa_next_free_vgpr 24
		.amdhsa_next_free_sgpr 62
		.amdhsa_accum_offset 24
		.amdhsa_reserve_vcc 1
		.amdhsa_float_round_mode_32 0
		.amdhsa_float_round_mode_16_64 0
		.amdhsa_float_denorm_mode_32 3
		.amdhsa_float_denorm_mode_16_64 3
		.amdhsa_dx10_clamp 1
		.amdhsa_ieee_mode 1
		.amdhsa_fp16_overflow 0
		.amdhsa_tg_split 0
		.amdhsa_exception_fp_ieee_invalid_op 0
		.amdhsa_exception_fp_denorm_src 0
		.amdhsa_exception_fp_ieee_div_zero 0
		.amdhsa_exception_fp_ieee_overflow 0
		.amdhsa_exception_fp_ieee_underflow 0
		.amdhsa_exception_fp_ieee_inexact 0
		.amdhsa_exception_int_div_zero 0
	.end_amdhsa_kernel
	.section	.text._ZN9rocsparseL12csrilu0_hashILj256ELj32ELj4EfEEviPKiS2_PT2_S2_PiS2_S5_S5_d21rocsparse_index_base_imNS_24const_host_device_scalarIfEENS7_IdEENS7_IS3_EEb,"axG",@progbits,_ZN9rocsparseL12csrilu0_hashILj256ELj32ELj4EfEEviPKiS2_PT2_S2_PiS2_S5_S5_d21rocsparse_index_base_imNS_24const_host_device_scalarIfEENS7_IdEENS7_IS3_EEb,comdat
.Lfunc_end3:
	.size	_ZN9rocsparseL12csrilu0_hashILj256ELj32ELj4EfEEviPKiS2_PT2_S2_PiS2_S5_S5_d21rocsparse_index_base_imNS_24const_host_device_scalarIfEENS7_IdEENS7_IS3_EEb, .Lfunc_end3-_ZN9rocsparseL12csrilu0_hashILj256ELj32ELj4EfEEviPKiS2_PT2_S2_PiS2_S5_S5_d21rocsparse_index_base_imNS_24const_host_device_scalarIfEENS7_IdEENS7_IS3_EEb
                                        ; -- End function
	.set _ZN9rocsparseL12csrilu0_hashILj256ELj32ELj4EfEEviPKiS2_PT2_S2_PiS2_S5_S5_d21rocsparse_index_base_imNS_24const_host_device_scalarIfEENS7_IdEENS7_IS3_EEb.num_vgpr, 24
	.set _ZN9rocsparseL12csrilu0_hashILj256ELj32ELj4EfEEviPKiS2_PT2_S2_PiS2_S5_S5_d21rocsparse_index_base_imNS_24const_host_device_scalarIfEENS7_IdEENS7_IS3_EEb.num_agpr, 0
	.set _ZN9rocsparseL12csrilu0_hashILj256ELj32ELj4EfEEviPKiS2_PT2_S2_PiS2_S5_S5_d21rocsparse_index_base_imNS_24const_host_device_scalarIfEENS7_IdEENS7_IS3_EEb.numbered_sgpr, 62
	.set _ZN9rocsparseL12csrilu0_hashILj256ELj32ELj4EfEEviPKiS2_PT2_S2_PiS2_S5_S5_d21rocsparse_index_base_imNS_24const_host_device_scalarIfEENS7_IdEENS7_IS3_EEb.num_named_barrier, 0
	.set _ZN9rocsparseL12csrilu0_hashILj256ELj32ELj4EfEEviPKiS2_PT2_S2_PiS2_S5_S5_d21rocsparse_index_base_imNS_24const_host_device_scalarIfEENS7_IdEENS7_IS3_EEb.private_seg_size, 0
	.set _ZN9rocsparseL12csrilu0_hashILj256ELj32ELj4EfEEviPKiS2_PT2_S2_PiS2_S5_S5_d21rocsparse_index_base_imNS_24const_host_device_scalarIfEENS7_IdEENS7_IS3_EEb.uses_vcc, 1
	.set _ZN9rocsparseL12csrilu0_hashILj256ELj32ELj4EfEEviPKiS2_PT2_S2_PiS2_S5_S5_d21rocsparse_index_base_imNS_24const_host_device_scalarIfEENS7_IdEENS7_IS3_EEb.uses_flat_scratch, 0
	.set _ZN9rocsparseL12csrilu0_hashILj256ELj32ELj4EfEEviPKiS2_PT2_S2_PiS2_S5_S5_d21rocsparse_index_base_imNS_24const_host_device_scalarIfEENS7_IdEENS7_IS3_EEb.has_dyn_sized_stack, 0
	.set _ZN9rocsparseL12csrilu0_hashILj256ELj32ELj4EfEEviPKiS2_PT2_S2_PiS2_S5_S5_d21rocsparse_index_base_imNS_24const_host_device_scalarIfEENS7_IdEENS7_IS3_EEb.has_recursion, 0
	.set _ZN9rocsparseL12csrilu0_hashILj256ELj32ELj4EfEEviPKiS2_PT2_S2_PiS2_S5_S5_d21rocsparse_index_base_imNS_24const_host_device_scalarIfEENS7_IdEENS7_IS3_EEb.has_indirect_call, 0
	.section	.AMDGPU.csdata,"",@progbits
; Kernel info:
; codeLenInByte = 2464
; TotalNumSgprs: 68
; NumVgprs: 24
; NumAgprs: 0
; TotalNumVgprs: 24
; ScratchSize: 0
; MemoryBound: 0
; FloatMode: 240
; IeeeMode: 1
; LDSByteSize: 8192 bytes/workgroup (compile time only)
; SGPRBlocks: 8
; VGPRBlocks: 2
; NumSGPRsForWavesPerEU: 68
; NumVGPRsForWavesPerEU: 24
; AccumOffset: 24
; Occupancy: 8
; WaveLimiterHint : 1
; COMPUTE_PGM_RSRC2:SCRATCH_EN: 0
; COMPUTE_PGM_RSRC2:USER_SGPR: 2
; COMPUTE_PGM_RSRC2:TRAP_HANDLER: 0
; COMPUTE_PGM_RSRC2:TGID_X_EN: 1
; COMPUTE_PGM_RSRC2:TGID_Y_EN: 0
; COMPUTE_PGM_RSRC2:TGID_Z_EN: 0
; COMPUTE_PGM_RSRC2:TIDIG_COMP_CNT: 0
; COMPUTE_PGM_RSRC3_GFX90A:ACCUM_OFFSET: 5
; COMPUTE_PGM_RSRC3_GFX90A:TG_SPLIT: 0
	.section	.text._ZN9rocsparseL12csrilu0_hashILj256ELj32ELj8EfEEviPKiS2_PT2_S2_PiS2_S5_S5_d21rocsparse_index_base_imNS_24const_host_device_scalarIfEENS7_IdEENS7_IS3_EEb,"axG",@progbits,_ZN9rocsparseL12csrilu0_hashILj256ELj32ELj8EfEEviPKiS2_PT2_S2_PiS2_S5_S5_d21rocsparse_index_base_imNS_24const_host_device_scalarIfEENS7_IdEENS7_IS3_EEb,comdat
	.globl	_ZN9rocsparseL12csrilu0_hashILj256ELj32ELj8EfEEviPKiS2_PT2_S2_PiS2_S5_S5_d21rocsparse_index_base_imNS_24const_host_device_scalarIfEENS7_IdEENS7_IS3_EEb ; -- Begin function _ZN9rocsparseL12csrilu0_hashILj256ELj32ELj8EfEEviPKiS2_PT2_S2_PiS2_S5_S5_d21rocsparse_index_base_imNS_24const_host_device_scalarIfEENS7_IdEENS7_IS3_EEb
	.p2align	8
	.type	_ZN9rocsparseL12csrilu0_hashILj256ELj32ELj8EfEEviPKiS2_PT2_S2_PiS2_S5_S5_d21rocsparse_index_base_imNS_24const_host_device_scalarIfEENS7_IdEENS7_IS3_EEb,@function
_ZN9rocsparseL12csrilu0_hashILj256ELj32ELj8EfEEviPKiS2_PT2_S2_PiS2_S5_S5_d21rocsparse_index_base_imNS_24const_host_device_scalarIfEENS7_IdEENS7_IS3_EEb: ; @_ZN9rocsparseL12csrilu0_hashILj256ELj32ELj8EfEEviPKiS2_PT2_S2_PiS2_S5_S5_d21rocsparse_index_base_imNS_24const_host_device_scalarIfEENS7_IdEENS7_IS3_EEb
; %bb.0:
	s_load_dword s3, s[0:1], 0x78
	s_load_dwordx2 s[28:29], s[0:1], 0x50
	s_load_dwordx8 s[20:27], s[0:1], 0x58
	s_waitcnt lgkmcnt(0)
	s_bitcmp1_b32 s3, 0
	s_cselect_b64 s[4:5], -1, 0
	s_cmp_eq_u32 s29, 0
	s_cselect_b64 s[6:7], -1, 0
	s_cmp_lg_u32 s29, 0
	s_cselect_b64 s[30:31], -1, 0
	s_or_b64 s[4:5], s[6:7], s[4:5]
	s_xor_b64 s[8:9], s[4:5], -1
	s_and_b64 s[10:11], s[6:7], exec
	s_cselect_b32 s11, 0, s25
	s_cselect_b32 s10, 0, s24
	s_and_b64 vcc, exec, s[4:5]
	s_cbranch_vccnz .LBB4_2
; %bb.1:
	s_load_dword s3, s[22:23], 0x0
	s_mov_b64 s[10:11], s[24:25]
	s_waitcnt lgkmcnt(0)
	v_mov_b32_e32 v13, s3
	s_branch .LBB4_3
.LBB4_2:
	v_mov_b32_e32 v1, s22
	v_cndmask_b32_e64 v13, v1, 0, s[6:7]
.LBB4_3:
	v_cndmask_b32_e64 v1, 0, 1, s[8:9]
	v_cmp_ne_u32_e64 s[4:5], 1, v1
	s_andn2_b64 vcc, exec, s[8:9]
	v_mov_b64_e32 v[2:3], s[10:11]
	s_cbranch_vccnz .LBB4_5
; %bb.4:
	v_mov_b64_e32 v[2:3], s[24:25]
	flat_load_dwordx2 v[2:3], v[2:3]
.LBB4_5:
	s_and_b64 vcc, exec, s[4:5]
	s_cbranch_vccnz .LBB4_7
; %bb.6:
	s_load_dword s3, s[26:27], 0x0
	s_waitcnt lgkmcnt(0)
	v_mov_b32_e32 v14, s3
	s_branch .LBB4_8
.LBB4_7:
	v_mov_b32_e32 v1, s26
	v_cndmask_b32_e64 v14, v1, 0, s[6:7]
.LBB4_8:
	s_load_dword s3, s[0:1], 0x0
	v_lshlrev_b32_e32 v1, 3, v0
	s_lshl_b32 s2, s2, 3
	v_and_b32_e32 v12, 31, v0
	v_and_b32_e32 v6, 0x700, v1
	v_mov_b32_e32 v1, 0x2000
	v_lshrrev_b32_e32 v0, 5, v0
	s_and_b32 s2, s2, 0x7fffff8
	v_lshl_or_b32 v5, v6, 2, v1
	v_or_b32_e32 v0, s2, v0
	v_lshl_or_b32 v1, v12, 2, v5
	v_mov_b32_e32 v4, -1
	s_waitcnt lgkmcnt(0)
	v_cmp_gt_i32_e32 vcc, s3, v0
	ds_write2_b32 v1, v4, v4 offset1:32
	ds_write2_b32 v1, v4, v4 offset0:64 offset1:96
	ds_write2_b32 v1, v4, v4 offset0:128 offset1:160
	;; [unrolled: 1-line block ×3, first 2 shown]
	s_waitcnt lgkmcnt(0)
	s_and_saveexec_b64 s[2:3], vcc
	s_cbranch_execz .LBB4_80
; %bb.9:
	s_load_dwordx16 s[4:19], s[0:1], 0x8
	v_lshlrev_b32_e32 v0, 2, v0
	v_lshlrev_b32_e32 v15, 2, v6
	s_waitcnt lgkmcnt(0)
	global_load_dword v0, v0, s[14:15]
	s_waitcnt vmcnt(0)
	v_ashrrev_i32_e32 v1, 31, v0
	v_lshlrev_b64 v[8:9], 2, v[0:1]
	v_lshl_add_u64 v[10:11], s[4:5], 0, v[8:9]
	global_load_dwordx2 v[10:11], v[10:11], off
	v_lshl_add_u64 v[8:9], s[10:11], 0, v[8:9]
	global_load_dword v4, v[8:9], off
	s_waitcnt vmcnt(1)
	v_subrev_u32_e32 v6, s28, v10
	v_subrev_u32_e32 v7, s28, v11
	v_add_u32_e32 v8, v6, v12
	v_cmp_lt_i32_e32 vcc, v8, v7
	s_and_saveexec_b64 s[2:3], vcc
	s_cbranch_execz .LBB4_32
; %bb.10:
	s_mov_b64 s[14:15], 0
	s_movk_i32 s29, 0x67
	v_mov_b32_e32 v10, -1
	s_branch .LBB4_12
.LBB4_11:                               ;   in Loop: Header=BB4_12 Depth=1
	s_or_b64 exec, exec, s[22:23]
	v_add_u32_e32 v8, 32, v8
	v_cmp_ge_i32_e32 vcc, v8, v7
	s_or_b64 s[14:15], vcc, s[14:15]
	s_andn2_b64 exec, exec, s[14:15]
	s_cbranch_execz .LBB4_32
.LBB4_12:                               ; =>This Loop Header: Depth=1
                                        ;     Child Loop BB4_21 Depth 2
	v_ashrrev_i32_e32 v9, 31, v8
	v_lshl_add_u64 v[16:17], v[8:9], 2, s[6:7]
	global_load_dword v9, v[16:17], off
	v_mov_b32_e32 v11, 0x100
	s_mov_b64 s[24:25], 0
                                        ; implicit-def: $sgpr22_sgpr23
                                        ; implicit-def: $sgpr26_sgpr27
                                        ; implicit-def: $sgpr34_sgpr35
	s_waitcnt vmcnt(0)
	v_mul_lo_u32 v17, v9, s29
	s_branch .LBB4_21
.LBB4_13:                               ;   in Loop: Header=BB4_21 Depth=2
	s_or_b64 exec, exec, s[54:55]
	s_orn2_b64 s[50:51], s[50:51], exec
	s_orn2_b64 s[52:53], s[52:53], exec
.LBB4_14:                               ;   in Loop: Header=BB4_21 Depth=2
	s_or_b64 exec, exec, s[48:49]
	s_and_b64 s[50:51], s[50:51], exec
	s_orn2_b64 s[48:49], s[52:53], exec
.LBB4_15:                               ;   in Loop: Header=BB4_21 Depth=2
	s_or_b64 exec, exec, s[46:47]
	s_orn2_b64 s[50:51], s[50:51], exec
	s_orn2_b64 s[46:47], s[48:49], exec
.LBB4_16:                               ;   in Loop: Header=BB4_21 Depth=2
	s_or_b64 exec, exec, s[44:45]
	s_and_b64 s[48:49], s[50:51], exec
	s_orn2_b64 s[44:45], s[46:47], exec
.LBB4_17:                               ;   in Loop: Header=BB4_21 Depth=2
	s_or_b64 exec, exec, s[42:43]
	s_orn2_b64 s[42:43], s[48:49], exec
	s_orn2_b64 s[44:45], s[44:45], exec
.LBB4_18:                               ;   in Loop: Header=BB4_21 Depth=2
	s_or_b64 exec, exec, s[40:41]
	s_and_b64 s[42:43], s[42:43], exec
	s_orn2_b64 s[40:41], s[44:45], exec
.LBB4_19:                               ;   in Loop: Header=BB4_21 Depth=2
	s_or_b64 exec, exec, s[38:39]
	s_andn2_b64 s[34:35], s[34:35], exec
	s_and_b64 s[38:39], s[42:43], exec
	s_or_b64 s[34:35], s[34:35], s[38:39]
	s_andn2_b64 s[26:27], s[26:27], exec
	s_and_b64 s[38:39], s[40:41], exec
	s_or_b64 s[26:27], s[26:27], s[38:39]
.LBB4_20:                               ;   in Loop: Header=BB4_21 Depth=2
	s_or_b64 exec, exec, s[36:37]
	s_and_b64 s[36:37], exec, s[26:27]
	s_or_b64 s[24:25], s[36:37], s[24:25]
	s_andn2_b64 s[22:23], s[22:23], exec
	s_and_b64 s[36:37], s[34:35], exec
	s_or_b64 s[22:23], s[22:23], s[36:37]
	s_andn2_b64 exec, exec, s[24:25]
	s_cbranch_execz .LBB4_30
.LBB4_21:                               ;   Parent Loop BB4_12 Depth=1
                                        ; =>  This Inner Loop Header: Depth=2
	v_and_b32_e32 v16, 0xff, v17
	v_lshl_add_u32 v18, v16, 2, v5
	ds_read_b32 v19, v18
	s_or_b64 s[34:35], s[34:35], exec
	s_or_b64 s[26:27], s[26:27], exec
	s_waitcnt lgkmcnt(0)
	v_cmp_ne_u32_e32 vcc, v19, v9
	s_and_saveexec_b64 s[36:37], vcc
	s_cbranch_execz .LBB4_20
; %bb.22:                               ;   in Loop: Header=BB4_21 Depth=2
	ds_cmpst_rtn_b32 v18, v18, v10, v9
	s_mov_b64 s[40:41], -1
	s_mov_b64 s[42:43], 0
	s_waitcnt lgkmcnt(0)
	v_cmp_ne_u32_e32 vcc, -1, v18
	s_and_saveexec_b64 s[38:39], vcc
	s_cbranch_execz .LBB4_19
; %bb.23:                               ;   in Loop: Header=BB4_21 Depth=2
	v_add_u32_e32 v16, 1, v17
	v_and_b32_e32 v16, 0xff, v16
	v_lshl_add_u32 v18, v16, 2, v5
	ds_read_b32 v19, v18
	s_mov_b64 s[44:45], -1
	s_mov_b64 s[42:43], -1
	s_waitcnt lgkmcnt(0)
	v_cmp_ne_u32_e32 vcc, v19, v9
	s_and_saveexec_b64 s[40:41], vcc
	s_cbranch_execz .LBB4_18
; %bb.24:                               ;   in Loop: Header=BB4_21 Depth=2
	ds_cmpst_rtn_b32 v18, v18, v10, v9
	s_mov_b64 s[48:49], 0
	s_waitcnt lgkmcnt(0)
	v_cmp_ne_u32_e32 vcc, -1, v18
	s_and_saveexec_b64 s[42:43], vcc
	s_cbranch_execz .LBB4_17
; %bb.25:                               ;   in Loop: Header=BB4_21 Depth=2
	v_add_u32_e32 v16, 2, v17
	v_and_b32_e32 v16, 0xff, v16
	v_lshl_add_u32 v18, v16, 2, v5
	ds_read_b32 v19, v18
	s_mov_b64 s[46:47], -1
	s_mov_b64 s[50:51], -1
	s_waitcnt lgkmcnt(0)
	v_cmp_ne_u32_e32 vcc, v19, v9
	s_and_saveexec_b64 s[44:45], vcc
	s_cbranch_execz .LBB4_16
; %bb.26:                               ;   in Loop: Header=BB4_21 Depth=2
	ds_cmpst_rtn_b32 v18, v18, v10, v9
	s_mov_b64 s[48:49], -1
	s_mov_b64 s[50:51], 0
	s_waitcnt lgkmcnt(0)
	v_cmp_ne_u32_e32 vcc, -1, v18
	s_and_saveexec_b64 s[46:47], vcc
	s_cbranch_execz .LBB4_15
; %bb.27:                               ;   in Loop: Header=BB4_21 Depth=2
	v_add_u32_e32 v16, 3, v17
	v_and_b32_e32 v16, 0xff, v16
	v_lshl_add_u32 v18, v16, 2, v5
	ds_read_b32 v17, v18
	s_mov_b64 s[52:53], -1
	s_mov_b64 s[50:51], -1
	s_waitcnt lgkmcnt(0)
	v_cmp_ne_u32_e32 vcc, v17, v9
                                        ; implicit-def: $vgpr17
	s_and_saveexec_b64 s[48:49], vcc
	s_cbranch_execz .LBB4_14
; %bb.28:                               ;   in Loop: Header=BB4_21 Depth=2
	ds_cmpst_rtn_b32 v17, v18, v10, v9
	s_mov_b64 s[50:51], 0
	s_waitcnt lgkmcnt(0)
	v_cmp_ne_u32_e32 vcc, -1, v17
                                        ; implicit-def: $vgpr17
	s_and_saveexec_b64 s[54:55], vcc
	s_cbranch_execz .LBB4_13
; %bb.29:                               ;   in Loop: Header=BB4_21 Depth=2
	v_add_u32_e32 v11, -4, v11
	v_cmp_eq_u32_e32 vcc, 0, v11
	s_mov_b64 s[50:51], exec
	v_add_u32_e32 v17, 1, v16
	s_orn2_b64 s[52:53], vcc, exec
	s_branch .LBB4_13
.LBB4_30:                               ;   in Loop: Header=BB4_12 Depth=1
	s_or_b64 exec, exec, s[24:25]
	s_xor_b64 s[22:23], s[22:23], -1
	s_and_saveexec_b64 s[24:25], s[22:23]
	s_xor_b64 s[22:23], exec, s[24:25]
	s_cbranch_execz .LBB4_11
; %bb.31:                               ;   in Loop: Header=BB4_12 Depth=1
	v_lshl_add_u32 v9, v16, 2, v15
	ds_write_b32 v9, v8
	s_branch .LBB4_11
.LBB4_32:
	s_or_b64 exec, exec, s[2:3]
	s_waitcnt vmcnt(0)
	v_cmp_lt_i32_e32 vcc, v6, v4
	s_waitcnt lgkmcnt(0)
	s_and_saveexec_b64 s[2:3], vcc
	s_cbranch_execz .LBB4_62
; %bb.33:
	v_add_u32_e32 v16, 1, v12
	s_mov_b64 s[14:15], 0
	s_movk_i32 s29, 0x67
	s_branch .LBB4_36
.LBB4_34:                               ;   in Loop: Header=BB4_36 Depth=1
	s_or_b64 exec, exec, s[24:25]
	v_add_u32_e32 v6, 1, v6
	v_cmp_ge_i32_e32 vcc, v6, v4
	s_orn2_b64 s[24:25], vcc, exec
.LBB4_35:                               ;   in Loop: Header=BB4_36 Depth=1
	s_or_b64 exec, exec, s[22:23]
	s_and_b64 s[22:23], exec, s[24:25]
	s_or_b64 s[14:15], s[22:23], s[14:15]
	s_andn2_b64 exec, exec, s[14:15]
	s_cbranch_execz .LBB4_62
.LBB4_36:                               ; =>This Loop Header: Depth=1
                                        ;     Child Loop BB4_37 Depth 2
                                        ;     Child Loop BB4_42 Depth 2
                                        ;       Child Loop BB4_51 Depth 3
	v_ashrrev_i32_e32 v7, 31, v6
	v_lshlrev_b64 v[8:9], 2, v[6:7]
	v_lshl_add_u64 v[10:11], s[6:7], 0, v[8:9]
	global_load_dword v7, v[10:11], off
	v_lshl_add_u64 v[8:9], s[8:9], 0, v[8:9]
	global_load_dword v17, v[8:9], off
	s_mov_b64 s[22:23], 0
	s_waitcnt vmcnt(1)
	v_subrev_u32_e32 v10, s28, v7
	v_ashrrev_i32_e32 v11, 31, v10
	v_lshlrev_b64 v[10:11], 2, v[10:11]
	v_lshl_add_u64 v[20:21], s[4:5], 0, v[10:11]
	v_lshl_add_u64 v[22:23], s[10:11], 0, v[10:11]
	global_load_dword v7, v[20:21], off offset:4
	global_load_dword v18, v[22:23], off
	v_lshl_add_u64 v[10:11], s[12:13], 0, v[10:11]
.LBB4_37:                               ;   Parent Loop BB4_36 Depth=1
                                        ; =>  This Inner Loop Header: Depth=2
	global_load_dword v19, v[10:11], off sc1
	s_waitcnt vmcnt(0)
	v_cmp_ne_u32_e32 vcc, 0, v19
	s_or_b64 s[22:23], vcc, s[22:23]
	s_andn2_b64 exec, exec, s[22:23]
	s_cbranch_execnz .LBB4_37
; %bb.38:                               ;   in Loop: Header=BB4_36 Depth=1
	s_or_b64 exec, exec, s[22:23]
	v_subrev_u32_e32 v7, s28, v7
	v_add_u32_e32 v10, -1, v7
	v_cmp_eq_u32_e32 vcc, -1, v18
	buffer_inv sc1
	s_mov_b64 s[24:25], -1
	v_cndmask_b32_e32 v10, v18, v10, vcc
	v_ashrrev_i32_e32 v11, 31, v10
	v_lshl_add_u64 v[18:19], v[10:11], 2, s[8:9]
	global_load_dword v11, v[18:19], off
	s_waitcnt vmcnt(0)
	v_cmp_neq_f32_e32 vcc, 0, v11
	s_and_saveexec_b64 s[22:23], vcc
	s_cbranch_execz .LBB4_35
; %bb.39:                               ;   in Loop: Header=BB4_36 Depth=1
	v_div_scale_f32 v18, s[24:25], v11, v11, v17
	v_rcp_f32_e32 v19, v18
	v_div_scale_f32 v20, vcc, v17, v11, v17
	v_fma_f32 v21, -v18, v19, 1.0
	v_fmac_f32_e32 v19, v21, v19
	v_mul_f32_e32 v21, v20, v19
	v_fma_f32 v22, -v18, v21, v20
	v_fmac_f32_e32 v21, v22, v19
	v_fma_f32 v18, -v18, v21, v20
	v_div_fmas_f32 v18, v18, v19, v21
	v_div_fixup_f32 v11, v18, v11, v17
	global_store_dword v[8:9], v11, off
	v_add_u32_e32 v8, v16, v10
	v_cmp_lt_i32_e32 vcc, v8, v7
	s_and_saveexec_b64 s[24:25], vcc
	s_cbranch_execz .LBB4_34
; %bb.40:                               ;   in Loop: Header=BB4_36 Depth=1
	s_mov_b64 s[26:27], 0
	s_branch .LBB4_42
.LBB4_41:                               ;   in Loop: Header=BB4_42 Depth=2
	s_or_b64 exec, exec, s[34:35]
	v_add_u32_e32 v8, 32, v8
	v_cmp_ge_i32_e32 vcc, v8, v7
	s_or_b64 s[26:27], vcc, s[26:27]
	s_andn2_b64 exec, exec, s[26:27]
	s_cbranch_execz .LBB4_34
.LBB4_42:                               ;   Parent Loop BB4_36 Depth=1
                                        ; =>  This Loop Header: Depth=2
                                        ;       Child Loop BB4_51 Depth 3
	v_ashrrev_i32_e32 v9, 31, v8
	v_lshl_add_u64 v[18:19], v[8:9], 2, s[6:7]
	global_load_dword v10, v[18:19], off
	v_mov_b32_e32 v17, 0x100
	s_mov_b64 s[36:37], 0
                                        ; implicit-def: $sgpr34_sgpr35
                                        ; implicit-def: $sgpr38_sgpr39
                                        ; implicit-def: $sgpr40_sgpr41
	s_waitcnt vmcnt(0)
	v_mul_lo_u32 v19, v10, s29
	s_branch .LBB4_51
.LBB4_43:                               ;   in Loop: Header=BB4_51 Depth=3
	s_or_b64 exec, exec, s[60:61]
	s_orn2_b64 s[56:57], s[56:57], exec
	s_orn2_b64 s[58:59], s[58:59], exec
.LBB4_44:                               ;   in Loop: Header=BB4_51 Depth=3
	s_or_b64 exec, exec, s[54:55]
	s_and_b64 s[56:57], s[56:57], exec
	s_orn2_b64 s[54:55], s[58:59], exec
.LBB4_45:                               ;   in Loop: Header=BB4_51 Depth=3
	s_or_b64 exec, exec, s[52:53]
	s_orn2_b64 s[56:57], s[56:57], exec
	s_orn2_b64 s[52:53], s[54:55], exec
.LBB4_46:                               ;   in Loop: Header=BB4_51 Depth=3
	s_or_b64 exec, exec, s[50:51]
	s_and_b64 s[54:55], s[56:57], exec
	s_orn2_b64 s[50:51], s[52:53], exec
.LBB4_47:                               ;   in Loop: Header=BB4_51 Depth=3
	s_or_b64 exec, exec, s[48:49]
	s_orn2_b64 s[48:49], s[54:55], exec
	s_orn2_b64 s[50:51], s[50:51], exec
.LBB4_48:                               ;   in Loop: Header=BB4_51 Depth=3
	s_or_b64 exec, exec, s[46:47]
	s_and_b64 s[48:49], s[48:49], exec
	s_orn2_b64 s[46:47], s[50:51], exec
.LBB4_49:                               ;   in Loop: Header=BB4_51 Depth=3
	s_or_b64 exec, exec, s[44:45]
	s_andn2_b64 s[40:41], s[40:41], exec
	s_and_b64 s[44:45], s[48:49], exec
	s_or_b64 s[40:41], s[40:41], s[44:45]
	s_andn2_b64 s[38:39], s[38:39], exec
	s_and_b64 s[44:45], s[46:47], exec
	s_or_b64 s[38:39], s[38:39], s[44:45]
.LBB4_50:                               ;   in Loop: Header=BB4_51 Depth=3
	s_or_b64 exec, exec, s[42:43]
	s_and_b64 s[42:43], exec, s[38:39]
	s_or_b64 s[36:37], s[42:43], s[36:37]
	s_andn2_b64 s[34:35], s[34:35], exec
	s_and_b64 s[42:43], s[40:41], exec
	s_or_b64 s[34:35], s[34:35], s[42:43]
	s_andn2_b64 exec, exec, s[36:37]
	s_cbranch_execz .LBB4_60
.LBB4_51:                               ;   Parent Loop BB4_36 Depth=1
                                        ;     Parent Loop BB4_42 Depth=2
                                        ; =>    This Inner Loop Header: Depth=3
	v_and_b32_e32 v18, 0xff, v19
	v_lshl_add_u32 v20, v18, 2, v5
	ds_read_b32 v20, v20
	s_or_b64 s[40:41], s[40:41], exec
	s_or_b64 s[38:39], s[38:39], exec
	s_waitcnt lgkmcnt(0)
	v_cmp_ne_u32_e32 vcc, -1, v20
	s_and_saveexec_b64 s[42:43], vcc
	s_cbranch_execz .LBB4_50
; %bb.52:                               ;   in Loop: Header=BB4_51 Depth=3
	v_cmp_ne_u32_e32 vcc, v20, v10
	s_mov_b64 s[46:47], -1
	s_mov_b64 s[48:49], 0
	s_and_saveexec_b64 s[44:45], vcc
	s_cbranch_execz .LBB4_49
; %bb.53:                               ;   in Loop: Header=BB4_51 Depth=3
	v_add_u32_e32 v18, 1, v19
	v_and_b32_e32 v18, 0xff, v18
	v_lshl_add_u32 v20, v18, 2, v5
	ds_read_b32 v20, v20
	s_mov_b64 s[50:51], -1
	s_mov_b64 s[48:49], -1
	s_waitcnt lgkmcnt(0)
	v_cmp_ne_u32_e32 vcc, -1, v20
	s_and_saveexec_b64 s[46:47], vcc
	s_cbranch_execz .LBB4_48
; %bb.54:                               ;   in Loop: Header=BB4_51 Depth=3
	v_cmp_ne_u32_e32 vcc, v20, v10
	s_mov_b64 s[54:55], 0
	s_and_saveexec_b64 s[48:49], vcc
	s_cbranch_execz .LBB4_47
; %bb.55:                               ;   in Loop: Header=BB4_51 Depth=3
	v_add_u32_e32 v18, 2, v19
	v_and_b32_e32 v18, 0xff, v18
	v_lshl_add_u32 v20, v18, 2, v5
	ds_read_b32 v20, v20
	s_mov_b64 s[52:53], -1
	s_mov_b64 s[56:57], -1
	s_waitcnt lgkmcnt(0)
	v_cmp_ne_u32_e32 vcc, -1, v20
	s_and_saveexec_b64 s[50:51], vcc
	s_cbranch_execz .LBB4_46
; %bb.56:                               ;   in Loop: Header=BB4_51 Depth=3
	v_cmp_ne_u32_e32 vcc, v20, v10
	s_mov_b64 s[54:55], -1
	s_mov_b64 s[56:57], 0
	s_and_saveexec_b64 s[52:53], vcc
	s_cbranch_execz .LBB4_45
; %bb.57:                               ;   in Loop: Header=BB4_51 Depth=3
	v_add_u32_e32 v18, 3, v19
	v_and_b32_e32 v18, 0xff, v18
	v_lshl_add_u32 v19, v18, 2, v5
	ds_read_b32 v20, v19
	s_mov_b64 s[58:59], -1
	s_mov_b64 s[56:57], -1
                                        ; implicit-def: $vgpr19
	s_waitcnt lgkmcnt(0)
	v_cmp_ne_u32_e32 vcc, -1, v20
	s_and_saveexec_b64 s[54:55], vcc
	s_cbranch_execz .LBB4_44
; %bb.58:                               ;   in Loop: Header=BB4_51 Depth=3
	v_cmp_ne_u32_e32 vcc, v20, v10
	s_mov_b64 s[56:57], 0
                                        ; implicit-def: $vgpr19
	s_and_saveexec_b64 s[60:61], vcc
	s_cbranch_execz .LBB4_43
; %bb.59:                               ;   in Loop: Header=BB4_51 Depth=3
	v_add_u32_e32 v17, -4, v17
	v_cmp_eq_u32_e32 vcc, 0, v17
	s_mov_b64 s[56:57], exec
	v_add_u32_e32 v19, 1, v18
	s_orn2_b64 s[58:59], vcc, exec
	s_branch .LBB4_43
.LBB4_60:                               ;   in Loop: Header=BB4_42 Depth=2
	s_or_b64 exec, exec, s[36:37]
	s_xor_b64 s[34:35], s[34:35], -1
	s_and_saveexec_b64 s[36:37], s[34:35]
	s_xor_b64 s[34:35], exec, s[36:37]
	s_cbranch_execz .LBB4_41
; %bb.61:                               ;   in Loop: Header=BB4_42 Depth=2
	v_lshl_add_u32 v10, v18, 2, v15
	ds_read_b32 v18, v10
	v_lshl_add_u64 v[20:21], v[8:9], 2, s[8:9]
	s_waitcnt lgkmcnt(0)
	v_ashrrev_i32_e32 v19, 31, v18
	v_lshl_add_u64 v[18:19], v[18:19], 2, s[8:9]
	global_load_dword v9, v[20:21], off
	global_load_dword v10, v[18:19], off
	s_waitcnt vmcnt(0)
	v_fma_f32 v9, -v11, v9, v10
	global_store_dword v[18:19], v9, off
	s_branch .LBB4_41
.LBB4_62:
	s_or_b64 exec, exec, s[2:3]
	v_cmp_lt_i32_e32 vcc, -1, v4
	s_and_saveexec_b64 s[6:7], vcc
	s_cbranch_execz .LBB4_78
; %bb.63:
	v_mov_b32_e32 v5, 0
	v_lshl_add_u64 v[6:7], v[4:5], 2, s[8:9]
	global_load_dword v8, v[6:7], off
	v_cmp_eq_u32_e64 s[2:3], 0, v12
	s_andn2_b64 vcc, exec, s[30:31]
	s_waitcnt vmcnt(0)
	v_cmp_gt_f32_e64 s[4:5], 0, v8
	s_nop 1
	v_cndmask_b32_e64 v4, v8, -v8, s[4:5]
	v_cvt_f64_f32_e32 v[4:5], v4
	s_mov_b64 s[4:5], -1
	s_cbranch_vccnz .LBB4_67
; %bb.64:
	s_cmp_eq_u64 s[20:21], 8
	v_cvt_f64_f32_e32 v[10:11], v13
	s_cselect_b64 vcc, -1, 0
	v_cndmask_b32_e32 v3, v11, v3, vcc
	v_cndmask_b32_e32 v2, v10, v2, vcc
	v_cmp_ge_f64_e32 vcc, v[2:3], v[4:5]
	s_and_b64 s[8:9], s[2:3], vcc
	s_and_saveexec_b64 s[4:5], s[8:9]
	s_cbranch_execz .LBB4_66
; %bb.65:
	global_store_dword v[6:7], v14, off
	buffer_wbl2 sc1
	s_waitcnt vmcnt(0)
	buffer_inv sc1
.LBB4_66:
	s_or_b64 exec, exec, s[4:5]
	s_mov_b64 s[4:5], 0
.LBB4_67:
	s_andn2_b64 vcc, exec, s[4:5]
	s_cbranch_vccnz .LBB4_78
; %bb.68:
	s_load_dwordx2 s[0:1], s[0:1], 0x48
	v_add_u32_e32 v2, s28, v0
	s_waitcnt lgkmcnt(0)
	v_cmp_ge_f64_e32 vcc, s[0:1], v[4:5]
	s_and_b64 s[4:5], s[2:3], vcc
	s_and_saveexec_b64 s[0:1], s[4:5]
	s_cbranch_execz .LBB4_73
; %bb.69:
	s_mov_b64 s[4:5], exec
	s_brev_b32 s8, -2
.LBB4_70:                               ; =>This Inner Loop Header: Depth=1
	s_ff1_i32_b64 s9, s[4:5]
	v_readlane_b32 s14, v2, s9
	s_lshl_b64 s[10:11], 1, s9
	s_min_i32 s8, s8, s14
	s_andn2_b64 s[4:5], s[4:5], s[10:11]
	s_cmp_lg_u64 s[4:5], 0
	s_cbranch_scc1 .LBB4_70
; %bb.71:
	v_mbcnt_lo_u32_b32 v3, exec_lo, 0
	v_mbcnt_hi_u32_b32 v3, exec_hi, v3
	v_cmp_eq_u32_e32 vcc, 0, v3
	s_and_saveexec_b64 s[4:5], vcc
	s_xor_b64 s[4:5], exec, s[4:5]
	s_cbranch_execz .LBB4_73
; %bb.72:
	v_mov_b32_e32 v3, 0
	v_mov_b32_e32 v4, s8
	global_atomic_smin v3, v4, s[18:19]
.LBB4_73:
	s_or_b64 exec, exec, s[0:1]
	v_cmp_eq_f32_e32 vcc, 0, v8
	s_and_b64 s[0:1], s[2:3], vcc
	s_and_b64 exec, exec, s[0:1]
	s_cbranch_execz .LBB4_78
; %bb.74:
	s_mov_b64 s[0:1], exec
	s_brev_b32 s2, -2
.LBB4_75:                               ; =>This Inner Loop Header: Depth=1
	s_ff1_i32_b64 s3, s[0:1]
	v_readlane_b32 s8, v2, s3
	s_lshl_b64 s[4:5], 1, s3
	s_min_i32 s2, s2, s8
	s_andn2_b64 s[0:1], s[0:1], s[4:5]
	s_cmp_lg_u64 s[0:1], 0
	s_cbranch_scc1 .LBB4_75
; %bb.76:
	v_mbcnt_lo_u32_b32 v2, exec_lo, 0
	v_mbcnt_hi_u32_b32 v2, exec_hi, v2
	v_cmp_eq_u32_e32 vcc, 0, v2
	s_and_saveexec_b64 s[0:1], vcc
	s_xor_b64 s[0:1], exec, s[0:1]
	s_cbranch_execz .LBB4_78
; %bb.77:
	v_mov_b32_e32 v2, 0
	v_mov_b32_e32 v3, s2
	global_atomic_smin v2, v3, s[16:17]
.LBB4_78:
	s_or_b64 exec, exec, s[6:7]
	v_cmp_eq_u32_e32 vcc, 0, v12
	buffer_wbl2 sc1
	s_waitcnt vmcnt(0)
	buffer_inv sc1
	s_and_b64 exec, exec, vcc
	s_cbranch_execz .LBB4_80
; %bb.79:
	v_lshl_add_u64 v[0:1], v[0:1], 2, s[12:13]
	v_mov_b32_e32 v2, 1
	buffer_wbl2 sc1
	global_store_dword v[0:1], v2, off sc1
.LBB4_80:
	s_endpgm
	.section	.rodata,"a",@progbits
	.p2align	6, 0x0
	.amdhsa_kernel _ZN9rocsparseL12csrilu0_hashILj256ELj32ELj8EfEEviPKiS2_PT2_S2_PiS2_S5_S5_d21rocsparse_index_base_imNS_24const_host_device_scalarIfEENS7_IdEENS7_IS3_EEb
		.amdhsa_group_segment_fixed_size 16384
		.amdhsa_private_segment_fixed_size 0
		.amdhsa_kernarg_size 124
		.amdhsa_user_sgpr_count 2
		.amdhsa_user_sgpr_dispatch_ptr 0
		.amdhsa_user_sgpr_queue_ptr 0
		.amdhsa_user_sgpr_kernarg_segment_ptr 1
		.amdhsa_user_sgpr_dispatch_id 0
		.amdhsa_user_sgpr_kernarg_preload_length 0
		.amdhsa_user_sgpr_kernarg_preload_offset 0
		.amdhsa_user_sgpr_private_segment_size 0
		.amdhsa_uses_dynamic_stack 0
		.amdhsa_enable_private_segment 0
		.amdhsa_system_sgpr_workgroup_id_x 1
		.amdhsa_system_sgpr_workgroup_id_y 0
		.amdhsa_system_sgpr_workgroup_id_z 0
		.amdhsa_system_sgpr_workgroup_info 0
		.amdhsa_system_vgpr_workitem_id 0
		.amdhsa_next_free_vgpr 24
		.amdhsa_next_free_sgpr 62
		.amdhsa_accum_offset 24
		.amdhsa_reserve_vcc 1
		.amdhsa_float_round_mode_32 0
		.amdhsa_float_round_mode_16_64 0
		.amdhsa_float_denorm_mode_32 3
		.amdhsa_float_denorm_mode_16_64 3
		.amdhsa_dx10_clamp 1
		.amdhsa_ieee_mode 1
		.amdhsa_fp16_overflow 0
		.amdhsa_tg_split 0
		.amdhsa_exception_fp_ieee_invalid_op 0
		.amdhsa_exception_fp_denorm_src 0
		.amdhsa_exception_fp_ieee_div_zero 0
		.amdhsa_exception_fp_ieee_overflow 0
		.amdhsa_exception_fp_ieee_underflow 0
		.amdhsa_exception_fp_ieee_inexact 0
		.amdhsa_exception_int_div_zero 0
	.end_amdhsa_kernel
	.section	.text._ZN9rocsparseL12csrilu0_hashILj256ELj32ELj8EfEEviPKiS2_PT2_S2_PiS2_S5_S5_d21rocsparse_index_base_imNS_24const_host_device_scalarIfEENS7_IdEENS7_IS3_EEb,"axG",@progbits,_ZN9rocsparseL12csrilu0_hashILj256ELj32ELj8EfEEviPKiS2_PT2_S2_PiS2_S5_S5_d21rocsparse_index_base_imNS_24const_host_device_scalarIfEENS7_IdEENS7_IS3_EEb,comdat
.Lfunc_end4:
	.size	_ZN9rocsparseL12csrilu0_hashILj256ELj32ELj8EfEEviPKiS2_PT2_S2_PiS2_S5_S5_d21rocsparse_index_base_imNS_24const_host_device_scalarIfEENS7_IdEENS7_IS3_EEb, .Lfunc_end4-_ZN9rocsparseL12csrilu0_hashILj256ELj32ELj8EfEEviPKiS2_PT2_S2_PiS2_S5_S5_d21rocsparse_index_base_imNS_24const_host_device_scalarIfEENS7_IdEENS7_IS3_EEb
                                        ; -- End function
	.set _ZN9rocsparseL12csrilu0_hashILj256ELj32ELj8EfEEviPKiS2_PT2_S2_PiS2_S5_S5_d21rocsparse_index_base_imNS_24const_host_device_scalarIfEENS7_IdEENS7_IS3_EEb.num_vgpr, 24
	.set _ZN9rocsparseL12csrilu0_hashILj256ELj32ELj8EfEEviPKiS2_PT2_S2_PiS2_S5_S5_d21rocsparse_index_base_imNS_24const_host_device_scalarIfEENS7_IdEENS7_IS3_EEb.num_agpr, 0
	.set _ZN9rocsparseL12csrilu0_hashILj256ELj32ELj8EfEEviPKiS2_PT2_S2_PiS2_S5_S5_d21rocsparse_index_base_imNS_24const_host_device_scalarIfEENS7_IdEENS7_IS3_EEb.numbered_sgpr, 62
	.set _ZN9rocsparseL12csrilu0_hashILj256ELj32ELj8EfEEviPKiS2_PT2_S2_PiS2_S5_S5_d21rocsparse_index_base_imNS_24const_host_device_scalarIfEENS7_IdEENS7_IS3_EEb.num_named_barrier, 0
	.set _ZN9rocsparseL12csrilu0_hashILj256ELj32ELj8EfEEviPKiS2_PT2_S2_PiS2_S5_S5_d21rocsparse_index_base_imNS_24const_host_device_scalarIfEENS7_IdEENS7_IS3_EEb.private_seg_size, 0
	.set _ZN9rocsparseL12csrilu0_hashILj256ELj32ELj8EfEEviPKiS2_PT2_S2_PiS2_S5_S5_d21rocsparse_index_base_imNS_24const_host_device_scalarIfEENS7_IdEENS7_IS3_EEb.uses_vcc, 1
	.set _ZN9rocsparseL12csrilu0_hashILj256ELj32ELj8EfEEviPKiS2_PT2_S2_PiS2_S5_S5_d21rocsparse_index_base_imNS_24const_host_device_scalarIfEENS7_IdEENS7_IS3_EEb.uses_flat_scratch, 0
	.set _ZN9rocsparseL12csrilu0_hashILj256ELj32ELj8EfEEviPKiS2_PT2_S2_PiS2_S5_S5_d21rocsparse_index_base_imNS_24const_host_device_scalarIfEENS7_IdEENS7_IS3_EEb.has_dyn_sized_stack, 0
	.set _ZN9rocsparseL12csrilu0_hashILj256ELj32ELj8EfEEviPKiS2_PT2_S2_PiS2_S5_S5_d21rocsparse_index_base_imNS_24const_host_device_scalarIfEENS7_IdEENS7_IS3_EEb.has_recursion, 0
	.set _ZN9rocsparseL12csrilu0_hashILj256ELj32ELj8EfEEviPKiS2_PT2_S2_PiS2_S5_S5_d21rocsparse_index_base_imNS_24const_host_device_scalarIfEENS7_IdEENS7_IS3_EEb.has_indirect_call, 0
	.section	.AMDGPU.csdata,"",@progbits
; Kernel info:
; codeLenInByte = 2480
; TotalNumSgprs: 68
; NumVgprs: 24
; NumAgprs: 0
; TotalNumVgprs: 24
; ScratchSize: 0
; MemoryBound: 0
; FloatMode: 240
; IeeeMode: 1
; LDSByteSize: 16384 bytes/workgroup (compile time only)
; SGPRBlocks: 8
; VGPRBlocks: 2
; NumSGPRsForWavesPerEU: 68
; NumVGPRsForWavesPerEU: 24
; AccumOffset: 24
; Occupancy: 8
; WaveLimiterHint : 1
; COMPUTE_PGM_RSRC2:SCRATCH_EN: 0
; COMPUTE_PGM_RSRC2:USER_SGPR: 2
; COMPUTE_PGM_RSRC2:TRAP_HANDLER: 0
; COMPUTE_PGM_RSRC2:TGID_X_EN: 1
; COMPUTE_PGM_RSRC2:TGID_Y_EN: 0
; COMPUTE_PGM_RSRC2:TGID_Z_EN: 0
; COMPUTE_PGM_RSRC2:TIDIG_COMP_CNT: 0
; COMPUTE_PGM_RSRC3_GFX90A:ACCUM_OFFSET: 5
; COMPUTE_PGM_RSRC3_GFX90A:TG_SPLIT: 0
	.section	.text._ZN9rocsparseL12csrilu0_hashILj256ELj32ELj16EfEEviPKiS2_PT2_S2_PiS2_S5_S5_d21rocsparse_index_base_imNS_24const_host_device_scalarIfEENS7_IdEENS7_IS3_EEb,"axG",@progbits,_ZN9rocsparseL12csrilu0_hashILj256ELj32ELj16EfEEviPKiS2_PT2_S2_PiS2_S5_S5_d21rocsparse_index_base_imNS_24const_host_device_scalarIfEENS7_IdEENS7_IS3_EEb,comdat
	.globl	_ZN9rocsparseL12csrilu0_hashILj256ELj32ELj16EfEEviPKiS2_PT2_S2_PiS2_S5_S5_d21rocsparse_index_base_imNS_24const_host_device_scalarIfEENS7_IdEENS7_IS3_EEb ; -- Begin function _ZN9rocsparseL12csrilu0_hashILj256ELj32ELj16EfEEviPKiS2_PT2_S2_PiS2_S5_S5_d21rocsparse_index_base_imNS_24const_host_device_scalarIfEENS7_IdEENS7_IS3_EEb
	.p2align	8
	.type	_ZN9rocsparseL12csrilu0_hashILj256ELj32ELj16EfEEviPKiS2_PT2_S2_PiS2_S5_S5_d21rocsparse_index_base_imNS_24const_host_device_scalarIfEENS7_IdEENS7_IS3_EEb,@function
_ZN9rocsparseL12csrilu0_hashILj256ELj32ELj16EfEEviPKiS2_PT2_S2_PiS2_S5_S5_d21rocsparse_index_base_imNS_24const_host_device_scalarIfEENS7_IdEENS7_IS3_EEb: ; @_ZN9rocsparseL12csrilu0_hashILj256ELj32ELj16EfEEviPKiS2_PT2_S2_PiS2_S5_S5_d21rocsparse_index_base_imNS_24const_host_device_scalarIfEENS7_IdEENS7_IS3_EEb
; %bb.0:
	s_load_dword s3, s[0:1], 0x78
	s_load_dwordx2 s[28:29], s[0:1], 0x50
	s_load_dwordx8 s[20:27], s[0:1], 0x58
	s_waitcnt lgkmcnt(0)
	s_bitcmp1_b32 s3, 0
	s_cselect_b64 s[4:5], -1, 0
	s_cmp_eq_u32 s29, 0
	s_cselect_b64 s[6:7], -1, 0
	s_cmp_lg_u32 s29, 0
	s_cselect_b64 s[30:31], -1, 0
	s_or_b64 s[4:5], s[6:7], s[4:5]
	s_xor_b64 s[8:9], s[4:5], -1
	s_and_b64 s[10:11], s[6:7], exec
	s_cselect_b32 s11, 0, s25
	s_cselect_b32 s10, 0, s24
	s_and_b64 vcc, exec, s[4:5]
	s_cbranch_vccnz .LBB5_2
; %bb.1:
	s_load_dword s3, s[22:23], 0x0
	s_mov_b64 s[10:11], s[24:25]
	s_waitcnt lgkmcnt(0)
	v_mov_b32_e32 v13, s3
	s_branch .LBB5_3
.LBB5_2:
	v_mov_b32_e32 v1, s22
	v_cndmask_b32_e64 v13, v1, 0, s[6:7]
.LBB5_3:
	v_cndmask_b32_e64 v1, 0, 1, s[8:9]
	v_cmp_ne_u32_e64 s[4:5], 1, v1
	s_andn2_b64 vcc, exec, s[8:9]
	v_mov_b64_e32 v[4:5], s[10:11]
	s_cbranch_vccnz .LBB5_5
; %bb.4:
	v_mov_b64_e32 v[2:3], s[24:25]
	flat_load_dwordx2 v[4:5], v[2:3]
.LBB5_5:
	s_and_b64 vcc, exec, s[4:5]
	s_cbranch_vccnz .LBB5_7
; %bb.6:
	s_load_dword s3, s[26:27], 0x0
	s_waitcnt lgkmcnt(0)
	v_mov_b32_e32 v14, s3
	s_branch .LBB5_8
.LBB5_7:
	v_mov_b32_e32 v1, s26
	v_cndmask_b32_e64 v14, v1, 0, s[6:7]
.LBB5_8:
	v_and_b32_e32 v12, 31, v0
	v_lshrrev_b32_e32 v1, 5, v0
	v_lshlrev_b32_e32 v3, 11, v1
	v_lshlrev_b32_e32 v6, 2, v12
	s_movk_i32 s3, 0x4000
	v_or_b32_e32 v2, 0xffffffe0, v12
	v_or3_b32 v3, v3, v6, s3
	s_mov_b64 s[4:5], 0
	v_mov_b32_e32 v6, -1
	s_movk_i32 s3, 0x1df
.LBB5_9:                                ; =>This Inner Loop Header: Depth=1
	v_add_u32_e32 v2, 32, v2
	v_cmp_lt_u32_e32 vcc, s3, v2
	ds_write_b32 v3, v6
	s_or_b64 s[4:5], vcc, s[4:5]
	v_add_u32_e32 v3, 0x80, v3
	s_andn2_b64 exec, exec, s[4:5]
	s_cbranch_execnz .LBB5_9
; %bb.10:
	s_or_b64 exec, exec, s[4:5]
	s_load_dword s3, s[0:1], 0x0
	s_lshl_b32 s2, s2, 3
	s_and_b32 s2, s2, 0x7fffff8
	v_or_b32_e32 v1, s2, v1
	s_waitcnt lgkmcnt(0)
	v_cmp_gt_i32_e32 vcc, s3, v1
	s_and_saveexec_b64 s[2:3], vcc
	s_cbranch_execz .LBB5_82
; %bb.11:
	s_load_dwordx16 s[4:19], s[0:1], 0x8
	v_lshlrev_b32_e32 v1, 2, v1
	v_lshlrev_b32_e32 v0, 6, v0
	s_waitcnt lgkmcnt(0)
	global_load_dword v2, v1, s[14:15]
	s_waitcnt vmcnt(0)
	v_ashrrev_i32_e32 v3, 31, v2
	v_lshlrev_b64 v[6:7], 2, v[2:3]
	v_lshl_add_u64 v[8:9], s[4:5], 0, v[6:7]
	global_load_dwordx2 v[8:9], v[8:9], off
	v_lshl_add_u64 v[6:7], s[10:11], 0, v[6:7]
	global_load_dword v6, v[6:7], off
	v_and_b32_e32 v7, 0x3800, v0
	v_or_b32_e32 v15, 0x4000, v7
	s_waitcnt vmcnt(1)
	v_subrev_u32_e32 v0, s28, v8
	v_subrev_u32_e32 v1, s28, v9
	v_add_u32_e32 v8, v0, v12
	v_cmp_lt_i32_e32 vcc, v8, v1
	s_and_saveexec_b64 s[2:3], vcc
	s_cbranch_execz .LBB5_34
; %bb.12:
	s_mov_b64 s[14:15], 0
	s_movk_i32 s29, 0x67
	v_mov_b32_e32 v10, -1
	s_branch .LBB5_14
.LBB5_13:                               ;   in Loop: Header=BB5_14 Depth=1
	s_or_b64 exec, exec, s[22:23]
	v_add_u32_e32 v8, 32, v8
	v_cmp_ge_i32_e32 vcc, v8, v1
	s_or_b64 s[14:15], vcc, s[14:15]
	s_andn2_b64 exec, exec, s[14:15]
	s_cbranch_execz .LBB5_34
.LBB5_14:                               ; =>This Loop Header: Depth=1
                                        ;     Child Loop BB5_23 Depth 2
	v_ashrrev_i32_e32 v9, 31, v8
	v_lshl_add_u64 v[16:17], v[8:9], 2, s[6:7]
	global_load_dword v9, v[16:17], off
	v_mov_b32_e32 v11, 0x200
	s_mov_b64 s[24:25], 0
                                        ; implicit-def: $sgpr22_sgpr23
                                        ; implicit-def: $sgpr26_sgpr27
                                        ; implicit-def: $sgpr34_sgpr35
	s_waitcnt vmcnt(0)
	v_mul_lo_u32 v17, v9, s29
	s_branch .LBB5_23
.LBB5_15:                               ;   in Loop: Header=BB5_23 Depth=2
	s_or_b64 exec, exec, s[54:55]
	s_orn2_b64 s[50:51], s[50:51], exec
	s_orn2_b64 s[52:53], s[52:53], exec
.LBB5_16:                               ;   in Loop: Header=BB5_23 Depth=2
	s_or_b64 exec, exec, s[48:49]
	s_and_b64 s[50:51], s[50:51], exec
	s_orn2_b64 s[48:49], s[52:53], exec
.LBB5_17:                               ;   in Loop: Header=BB5_23 Depth=2
	s_or_b64 exec, exec, s[46:47]
	s_orn2_b64 s[50:51], s[50:51], exec
	s_orn2_b64 s[46:47], s[48:49], exec
.LBB5_18:                               ;   in Loop: Header=BB5_23 Depth=2
	s_or_b64 exec, exec, s[44:45]
	s_and_b64 s[48:49], s[50:51], exec
	s_orn2_b64 s[44:45], s[46:47], exec
.LBB5_19:                               ;   in Loop: Header=BB5_23 Depth=2
	s_or_b64 exec, exec, s[42:43]
	s_orn2_b64 s[42:43], s[48:49], exec
	s_orn2_b64 s[44:45], s[44:45], exec
.LBB5_20:                               ;   in Loop: Header=BB5_23 Depth=2
	s_or_b64 exec, exec, s[40:41]
	s_and_b64 s[42:43], s[42:43], exec
	s_orn2_b64 s[40:41], s[44:45], exec
.LBB5_21:                               ;   in Loop: Header=BB5_23 Depth=2
	s_or_b64 exec, exec, s[38:39]
	s_andn2_b64 s[34:35], s[34:35], exec
	s_and_b64 s[38:39], s[42:43], exec
	s_or_b64 s[34:35], s[34:35], s[38:39]
	s_andn2_b64 s[26:27], s[26:27], exec
	s_and_b64 s[38:39], s[40:41], exec
	s_or_b64 s[26:27], s[26:27], s[38:39]
.LBB5_22:                               ;   in Loop: Header=BB5_23 Depth=2
	s_or_b64 exec, exec, s[36:37]
	s_and_b64 s[36:37], exec, s[26:27]
	s_or_b64 s[24:25], s[36:37], s[24:25]
	s_andn2_b64 s[22:23], s[22:23], exec
	s_and_b64 s[36:37], s[34:35], exec
	s_or_b64 s[22:23], s[22:23], s[36:37]
	s_andn2_b64 exec, exec, s[24:25]
	s_cbranch_execz .LBB5_32
.LBB5_23:                               ;   Parent Loop BB5_14 Depth=1
                                        ; =>  This Inner Loop Header: Depth=2
	v_and_b32_e32 v16, 0x1ff, v17
	v_lshl_add_u32 v18, v16, 2, v15
	ds_read_b32 v19, v18
	s_or_b64 s[34:35], s[34:35], exec
	s_or_b64 s[26:27], s[26:27], exec
	s_waitcnt lgkmcnt(0)
	v_cmp_ne_u32_e32 vcc, v19, v9
	s_and_saveexec_b64 s[36:37], vcc
	s_cbranch_execz .LBB5_22
; %bb.24:                               ;   in Loop: Header=BB5_23 Depth=2
	ds_cmpst_rtn_b32 v18, v18, v10, v9
	s_mov_b64 s[40:41], -1
	s_mov_b64 s[42:43], 0
	s_waitcnt lgkmcnt(0)
	v_cmp_ne_u32_e32 vcc, -1, v18
	s_and_saveexec_b64 s[38:39], vcc
	s_cbranch_execz .LBB5_21
; %bb.25:                               ;   in Loop: Header=BB5_23 Depth=2
	v_add_u32_e32 v16, 1, v17
	v_and_b32_e32 v16, 0x1ff, v16
	v_lshl_add_u32 v18, v16, 2, v15
	ds_read_b32 v19, v18
	s_mov_b64 s[44:45], -1
	s_mov_b64 s[42:43], -1
	s_waitcnt lgkmcnt(0)
	v_cmp_ne_u32_e32 vcc, v19, v9
	s_and_saveexec_b64 s[40:41], vcc
	s_cbranch_execz .LBB5_20
; %bb.26:                               ;   in Loop: Header=BB5_23 Depth=2
	ds_cmpst_rtn_b32 v18, v18, v10, v9
	s_mov_b64 s[48:49], 0
	s_waitcnt lgkmcnt(0)
	v_cmp_ne_u32_e32 vcc, -1, v18
	s_and_saveexec_b64 s[42:43], vcc
	s_cbranch_execz .LBB5_19
; %bb.27:                               ;   in Loop: Header=BB5_23 Depth=2
	v_add_u32_e32 v16, 2, v17
	v_and_b32_e32 v16, 0x1ff, v16
	v_lshl_add_u32 v18, v16, 2, v15
	ds_read_b32 v19, v18
	s_mov_b64 s[46:47], -1
	s_mov_b64 s[50:51], -1
	s_waitcnt lgkmcnt(0)
	v_cmp_ne_u32_e32 vcc, v19, v9
	s_and_saveexec_b64 s[44:45], vcc
	s_cbranch_execz .LBB5_18
; %bb.28:                               ;   in Loop: Header=BB5_23 Depth=2
	ds_cmpst_rtn_b32 v18, v18, v10, v9
	s_mov_b64 s[48:49], -1
	s_mov_b64 s[50:51], 0
	s_waitcnt lgkmcnt(0)
	v_cmp_ne_u32_e32 vcc, -1, v18
	s_and_saveexec_b64 s[46:47], vcc
	s_cbranch_execz .LBB5_17
; %bb.29:                               ;   in Loop: Header=BB5_23 Depth=2
	v_add_u32_e32 v16, 3, v17
	v_and_b32_e32 v16, 0x1ff, v16
	v_lshl_add_u32 v18, v16, 2, v15
	ds_read_b32 v17, v18
	s_mov_b64 s[52:53], -1
	s_mov_b64 s[50:51], -1
	s_waitcnt lgkmcnt(0)
	v_cmp_ne_u32_e32 vcc, v17, v9
                                        ; implicit-def: $vgpr17
	s_and_saveexec_b64 s[48:49], vcc
	s_cbranch_execz .LBB5_16
; %bb.30:                               ;   in Loop: Header=BB5_23 Depth=2
	ds_cmpst_rtn_b32 v17, v18, v10, v9
	s_mov_b64 s[50:51], 0
	s_waitcnt lgkmcnt(0)
	v_cmp_ne_u32_e32 vcc, -1, v17
                                        ; implicit-def: $vgpr17
	s_and_saveexec_b64 s[54:55], vcc
	s_cbranch_execz .LBB5_15
; %bb.31:                               ;   in Loop: Header=BB5_23 Depth=2
	v_add_u32_e32 v11, -4, v11
	v_cmp_eq_u32_e32 vcc, 0, v11
	s_mov_b64 s[50:51], exec
	v_add_u32_e32 v17, 1, v16
	s_orn2_b64 s[52:53], vcc, exec
	s_branch .LBB5_15
.LBB5_32:                               ;   in Loop: Header=BB5_14 Depth=1
	s_or_b64 exec, exec, s[24:25]
	s_xor_b64 s[22:23], s[22:23], -1
	s_and_saveexec_b64 s[24:25], s[22:23]
	s_xor_b64 s[22:23], exec, s[24:25]
	s_cbranch_execz .LBB5_13
; %bb.33:                               ;   in Loop: Header=BB5_14 Depth=1
	v_lshl_add_u32 v9, v16, 2, v7
	ds_write_b32 v9, v8
	s_branch .LBB5_13
.LBB5_34:
	s_or_b64 exec, exec, s[2:3]
	s_waitcnt vmcnt(0)
	v_cmp_lt_i32_e32 vcc, v0, v6
	s_waitcnt lgkmcnt(0)
	s_and_saveexec_b64 s[2:3], vcc
	s_cbranch_execz .LBB5_64
; %bb.35:
	v_add_u32_e32 v16, 1, v12
	s_mov_b64 s[14:15], 0
	s_movk_i32 s29, 0x67
	s_branch .LBB5_38
.LBB5_36:                               ;   in Loop: Header=BB5_38 Depth=1
	s_or_b64 exec, exec, s[24:25]
	v_add_u32_e32 v0, 1, v0
	v_cmp_ge_i32_e32 vcc, v0, v6
	s_orn2_b64 s[24:25], vcc, exec
.LBB5_37:                               ;   in Loop: Header=BB5_38 Depth=1
	s_or_b64 exec, exec, s[22:23]
	s_and_b64 s[22:23], exec, s[24:25]
	s_or_b64 s[14:15], s[22:23], s[14:15]
	s_andn2_b64 exec, exec, s[14:15]
	s_cbranch_execz .LBB5_64
.LBB5_38:                               ; =>This Loop Header: Depth=1
                                        ;     Child Loop BB5_39 Depth 2
                                        ;     Child Loop BB5_44 Depth 2
                                        ;       Child Loop BB5_53 Depth 3
	v_ashrrev_i32_e32 v1, 31, v0
	v_lshlrev_b64 v[8:9], 2, v[0:1]
	v_lshl_add_u64 v[10:11], s[6:7], 0, v[8:9]
	global_load_dword v1, v[10:11], off
	v_lshl_add_u64 v[8:9], s[8:9], 0, v[8:9]
	global_load_dword v17, v[8:9], off
	s_mov_b64 s[22:23], 0
	s_waitcnt vmcnt(1)
	v_subrev_u32_e32 v10, s28, v1
	v_ashrrev_i32_e32 v11, 31, v10
	v_lshlrev_b64 v[10:11], 2, v[10:11]
	v_lshl_add_u64 v[20:21], s[4:5], 0, v[10:11]
	v_lshl_add_u64 v[22:23], s[10:11], 0, v[10:11]
	global_load_dword v1, v[20:21], off offset:4
	global_load_dword v18, v[22:23], off
	v_lshl_add_u64 v[10:11], s[12:13], 0, v[10:11]
.LBB5_39:                               ;   Parent Loop BB5_38 Depth=1
                                        ; =>  This Inner Loop Header: Depth=2
	global_load_dword v19, v[10:11], off sc1
	s_waitcnt vmcnt(0)
	v_cmp_ne_u32_e32 vcc, 0, v19
	s_or_b64 s[22:23], vcc, s[22:23]
	s_andn2_b64 exec, exec, s[22:23]
	s_cbranch_execnz .LBB5_39
; %bb.40:                               ;   in Loop: Header=BB5_38 Depth=1
	s_or_b64 exec, exec, s[22:23]
	v_subrev_u32_e32 v1, s28, v1
	v_add_u32_e32 v10, -1, v1
	v_cmp_eq_u32_e32 vcc, -1, v18
	buffer_inv sc1
	s_mov_b64 s[24:25], -1
	v_cndmask_b32_e32 v10, v18, v10, vcc
	v_ashrrev_i32_e32 v11, 31, v10
	v_lshl_add_u64 v[18:19], v[10:11], 2, s[8:9]
	global_load_dword v11, v[18:19], off
	s_waitcnt vmcnt(0)
	v_cmp_neq_f32_e32 vcc, 0, v11
	s_and_saveexec_b64 s[22:23], vcc
	s_cbranch_execz .LBB5_37
; %bb.41:                               ;   in Loop: Header=BB5_38 Depth=1
	v_div_scale_f32 v18, s[24:25], v11, v11, v17
	v_rcp_f32_e32 v19, v18
	v_div_scale_f32 v20, vcc, v17, v11, v17
	v_fma_f32 v21, -v18, v19, 1.0
	v_fmac_f32_e32 v19, v21, v19
	v_mul_f32_e32 v21, v20, v19
	v_fma_f32 v22, -v18, v21, v20
	v_fmac_f32_e32 v21, v22, v19
	v_fma_f32 v18, -v18, v21, v20
	v_div_fmas_f32 v18, v18, v19, v21
	v_div_fixup_f32 v11, v18, v11, v17
	global_store_dword v[8:9], v11, off
	v_add_u32_e32 v8, v16, v10
	v_cmp_lt_i32_e32 vcc, v8, v1
	s_and_saveexec_b64 s[24:25], vcc
	s_cbranch_execz .LBB5_36
; %bb.42:                               ;   in Loop: Header=BB5_38 Depth=1
	s_mov_b64 s[26:27], 0
	s_branch .LBB5_44
.LBB5_43:                               ;   in Loop: Header=BB5_44 Depth=2
	s_or_b64 exec, exec, s[34:35]
	v_add_u32_e32 v8, 32, v8
	v_cmp_ge_i32_e32 vcc, v8, v1
	s_or_b64 s[26:27], vcc, s[26:27]
	s_andn2_b64 exec, exec, s[26:27]
	s_cbranch_execz .LBB5_36
.LBB5_44:                               ;   Parent Loop BB5_38 Depth=1
                                        ; =>  This Loop Header: Depth=2
                                        ;       Child Loop BB5_53 Depth 3
	v_ashrrev_i32_e32 v9, 31, v8
	v_lshl_add_u64 v[18:19], v[8:9], 2, s[6:7]
	global_load_dword v10, v[18:19], off
	v_mov_b32_e32 v17, 0x200
	s_mov_b64 s[36:37], 0
                                        ; implicit-def: $sgpr34_sgpr35
                                        ; implicit-def: $sgpr38_sgpr39
                                        ; implicit-def: $sgpr40_sgpr41
	s_waitcnt vmcnt(0)
	v_mul_lo_u32 v19, v10, s29
	s_branch .LBB5_53
.LBB5_45:                               ;   in Loop: Header=BB5_53 Depth=3
	s_or_b64 exec, exec, s[60:61]
	s_orn2_b64 s[56:57], s[56:57], exec
	s_orn2_b64 s[58:59], s[58:59], exec
.LBB5_46:                               ;   in Loop: Header=BB5_53 Depth=3
	s_or_b64 exec, exec, s[54:55]
	s_and_b64 s[56:57], s[56:57], exec
	s_orn2_b64 s[54:55], s[58:59], exec
.LBB5_47:                               ;   in Loop: Header=BB5_53 Depth=3
	s_or_b64 exec, exec, s[52:53]
	s_orn2_b64 s[56:57], s[56:57], exec
	s_orn2_b64 s[52:53], s[54:55], exec
.LBB5_48:                               ;   in Loop: Header=BB5_53 Depth=3
	s_or_b64 exec, exec, s[50:51]
	s_and_b64 s[54:55], s[56:57], exec
	s_orn2_b64 s[50:51], s[52:53], exec
.LBB5_49:                               ;   in Loop: Header=BB5_53 Depth=3
	s_or_b64 exec, exec, s[48:49]
	s_orn2_b64 s[48:49], s[54:55], exec
	s_orn2_b64 s[50:51], s[50:51], exec
.LBB5_50:                               ;   in Loop: Header=BB5_53 Depth=3
	s_or_b64 exec, exec, s[46:47]
	s_and_b64 s[48:49], s[48:49], exec
	s_orn2_b64 s[46:47], s[50:51], exec
.LBB5_51:                               ;   in Loop: Header=BB5_53 Depth=3
	s_or_b64 exec, exec, s[44:45]
	s_andn2_b64 s[40:41], s[40:41], exec
	s_and_b64 s[44:45], s[48:49], exec
	s_or_b64 s[40:41], s[40:41], s[44:45]
	s_andn2_b64 s[38:39], s[38:39], exec
	s_and_b64 s[44:45], s[46:47], exec
	s_or_b64 s[38:39], s[38:39], s[44:45]
.LBB5_52:                               ;   in Loop: Header=BB5_53 Depth=3
	s_or_b64 exec, exec, s[42:43]
	s_and_b64 s[42:43], exec, s[38:39]
	s_or_b64 s[36:37], s[42:43], s[36:37]
	s_andn2_b64 s[34:35], s[34:35], exec
	s_and_b64 s[42:43], s[40:41], exec
	s_or_b64 s[34:35], s[34:35], s[42:43]
	s_andn2_b64 exec, exec, s[36:37]
	s_cbranch_execz .LBB5_62
.LBB5_53:                               ;   Parent Loop BB5_38 Depth=1
                                        ;     Parent Loop BB5_44 Depth=2
                                        ; =>    This Inner Loop Header: Depth=3
	v_and_b32_e32 v18, 0x1ff, v19
	v_lshl_add_u32 v20, v18, 2, v15
	ds_read_b32 v20, v20
	s_or_b64 s[40:41], s[40:41], exec
	s_or_b64 s[38:39], s[38:39], exec
	s_waitcnt lgkmcnt(0)
	v_cmp_ne_u32_e32 vcc, -1, v20
	s_and_saveexec_b64 s[42:43], vcc
	s_cbranch_execz .LBB5_52
; %bb.54:                               ;   in Loop: Header=BB5_53 Depth=3
	v_cmp_ne_u32_e32 vcc, v20, v10
	s_mov_b64 s[46:47], -1
	s_mov_b64 s[48:49], 0
	s_and_saveexec_b64 s[44:45], vcc
	s_cbranch_execz .LBB5_51
; %bb.55:                               ;   in Loop: Header=BB5_53 Depth=3
	v_add_u32_e32 v18, 1, v19
	v_and_b32_e32 v18, 0x1ff, v18
	v_lshl_add_u32 v20, v18, 2, v15
	ds_read_b32 v20, v20
	s_mov_b64 s[50:51], -1
	s_mov_b64 s[48:49], -1
	s_waitcnt lgkmcnt(0)
	v_cmp_ne_u32_e32 vcc, -1, v20
	s_and_saveexec_b64 s[46:47], vcc
	s_cbranch_execz .LBB5_50
; %bb.56:                               ;   in Loop: Header=BB5_53 Depth=3
	v_cmp_ne_u32_e32 vcc, v20, v10
	s_mov_b64 s[54:55], 0
	s_and_saveexec_b64 s[48:49], vcc
	s_cbranch_execz .LBB5_49
; %bb.57:                               ;   in Loop: Header=BB5_53 Depth=3
	v_add_u32_e32 v18, 2, v19
	v_and_b32_e32 v18, 0x1ff, v18
	v_lshl_add_u32 v20, v18, 2, v15
	ds_read_b32 v20, v20
	s_mov_b64 s[52:53], -1
	s_mov_b64 s[56:57], -1
	s_waitcnt lgkmcnt(0)
	v_cmp_ne_u32_e32 vcc, -1, v20
	s_and_saveexec_b64 s[50:51], vcc
	s_cbranch_execz .LBB5_48
; %bb.58:                               ;   in Loop: Header=BB5_53 Depth=3
	v_cmp_ne_u32_e32 vcc, v20, v10
	s_mov_b64 s[54:55], -1
	s_mov_b64 s[56:57], 0
	s_and_saveexec_b64 s[52:53], vcc
	s_cbranch_execz .LBB5_47
; %bb.59:                               ;   in Loop: Header=BB5_53 Depth=3
	v_add_u32_e32 v18, 3, v19
	v_and_b32_e32 v18, 0x1ff, v18
	v_lshl_add_u32 v19, v18, 2, v15
	ds_read_b32 v20, v19
	s_mov_b64 s[58:59], -1
	s_mov_b64 s[56:57], -1
                                        ; implicit-def: $vgpr19
	s_waitcnt lgkmcnt(0)
	v_cmp_ne_u32_e32 vcc, -1, v20
	s_and_saveexec_b64 s[54:55], vcc
	s_cbranch_execz .LBB5_46
; %bb.60:                               ;   in Loop: Header=BB5_53 Depth=3
	v_cmp_ne_u32_e32 vcc, v20, v10
	s_mov_b64 s[56:57], 0
                                        ; implicit-def: $vgpr19
	s_and_saveexec_b64 s[60:61], vcc
	s_cbranch_execz .LBB5_45
; %bb.61:                               ;   in Loop: Header=BB5_53 Depth=3
	v_add_u32_e32 v17, -4, v17
	v_cmp_eq_u32_e32 vcc, 0, v17
	s_mov_b64 s[56:57], exec
	v_add_u32_e32 v19, 1, v18
	s_orn2_b64 s[58:59], vcc, exec
	s_branch .LBB5_45
.LBB5_62:                               ;   in Loop: Header=BB5_44 Depth=2
	s_or_b64 exec, exec, s[36:37]
	s_xor_b64 s[34:35], s[34:35], -1
	s_and_saveexec_b64 s[36:37], s[34:35]
	s_xor_b64 s[34:35], exec, s[36:37]
	s_cbranch_execz .LBB5_43
; %bb.63:                               ;   in Loop: Header=BB5_44 Depth=2
	v_lshl_add_u32 v10, v18, 2, v7
	ds_read_b32 v18, v10
	v_lshl_add_u64 v[20:21], v[8:9], 2, s[8:9]
	s_waitcnt lgkmcnt(0)
	v_ashrrev_i32_e32 v19, 31, v18
	v_lshl_add_u64 v[18:19], v[18:19], 2, s[8:9]
	global_load_dword v9, v[20:21], off
	global_load_dword v10, v[18:19], off
	s_waitcnt vmcnt(0)
	v_fma_f32 v9, -v11, v9, v10
	global_store_dword v[18:19], v9, off
	s_branch .LBB5_43
.LBB5_64:
	s_or_b64 exec, exec, s[2:3]
	v_cmp_lt_i32_e32 vcc, -1, v6
	s_and_saveexec_b64 s[6:7], vcc
	s_cbranch_execz .LBB5_80
; %bb.65:
	v_mov_b32_e32 v7, 0
	v_lshl_add_u64 v[6:7], v[6:7], 2, s[8:9]
	global_load_dword v8, v[6:7], off
	v_cmp_eq_u32_e64 s[2:3], 0, v12
	s_andn2_b64 vcc, exec, s[30:31]
	s_waitcnt vmcnt(0)
	v_cmp_gt_f32_e64 s[4:5], 0, v8
	s_nop 1
	v_cndmask_b32_e64 v0, v8, -v8, s[4:5]
	v_cvt_f64_f32_e32 v[0:1], v0
	s_mov_b64 s[4:5], -1
	s_cbranch_vccnz .LBB5_69
; %bb.66:
	s_cmp_eq_u64 s[20:21], 8
	v_cvt_f64_f32_e32 v[10:11], v13
	s_cselect_b64 vcc, -1, 0
	v_cndmask_b32_e32 v5, v11, v5, vcc
	v_cndmask_b32_e32 v4, v10, v4, vcc
	v_cmp_ge_f64_e32 vcc, v[4:5], v[0:1]
	s_and_b64 s[8:9], s[2:3], vcc
	s_and_saveexec_b64 s[4:5], s[8:9]
	s_cbranch_execz .LBB5_68
; %bb.67:
	global_store_dword v[6:7], v14, off
	buffer_wbl2 sc1
	s_waitcnt vmcnt(0)
	buffer_inv sc1
.LBB5_68:
	s_or_b64 exec, exec, s[4:5]
	s_mov_b64 s[4:5], 0
.LBB5_69:
	s_andn2_b64 vcc, exec, s[4:5]
	s_cbranch_vccnz .LBB5_80
; %bb.70:
	s_load_dwordx2 s[0:1], s[0:1], 0x48
	s_waitcnt lgkmcnt(0)
	v_cmp_ge_f64_e32 vcc, s[0:1], v[0:1]
	s_and_b64 s[4:5], s[2:3], vcc
	v_add_u32_e32 v0, s28, v2
	s_and_saveexec_b64 s[0:1], s[4:5]
	s_cbranch_execz .LBB5_75
; %bb.71:
	s_mov_b64 s[4:5], exec
	s_brev_b32 s8, -2
.LBB5_72:                               ; =>This Inner Loop Header: Depth=1
	s_ff1_i32_b64 s9, s[4:5]
	v_readlane_b32 s14, v0, s9
	s_lshl_b64 s[10:11], 1, s9
	s_min_i32 s8, s8, s14
	s_andn2_b64 s[4:5], s[4:5], s[10:11]
	s_cmp_lg_u64 s[4:5], 0
	s_cbranch_scc1 .LBB5_72
; %bb.73:
	v_mbcnt_lo_u32_b32 v1, exec_lo, 0
	v_mbcnt_hi_u32_b32 v1, exec_hi, v1
	v_cmp_eq_u32_e32 vcc, 0, v1
	s_and_saveexec_b64 s[4:5], vcc
	s_xor_b64 s[4:5], exec, s[4:5]
	s_cbranch_execz .LBB5_75
; %bb.74:
	v_mov_b32_e32 v1, 0
	v_mov_b32_e32 v4, s8
	global_atomic_smin v1, v4, s[18:19]
.LBB5_75:
	s_or_b64 exec, exec, s[0:1]
	v_cmp_eq_f32_e32 vcc, 0, v8
	s_and_b64 s[0:1], s[2:3], vcc
	s_and_b64 exec, exec, s[0:1]
	s_cbranch_execz .LBB5_80
; %bb.76:
	s_mov_b64 s[0:1], exec
	s_brev_b32 s2, -2
.LBB5_77:                               ; =>This Inner Loop Header: Depth=1
	s_ff1_i32_b64 s3, s[0:1]
	v_readlane_b32 s8, v0, s3
	s_lshl_b64 s[4:5], 1, s3
	s_min_i32 s2, s2, s8
	s_andn2_b64 s[0:1], s[0:1], s[4:5]
	s_cmp_lg_u64 s[0:1], 0
	s_cbranch_scc1 .LBB5_77
; %bb.78:
	v_mbcnt_lo_u32_b32 v0, exec_lo, 0
	v_mbcnt_hi_u32_b32 v0, exec_hi, v0
	v_cmp_eq_u32_e32 vcc, 0, v0
	s_and_saveexec_b64 s[0:1], vcc
	s_xor_b64 s[0:1], exec, s[0:1]
	s_cbranch_execz .LBB5_80
; %bb.79:
	v_mov_b32_e32 v0, 0
	v_mov_b32_e32 v1, s2
	global_atomic_smin v0, v1, s[16:17]
.LBB5_80:
	s_or_b64 exec, exec, s[6:7]
	v_cmp_eq_u32_e32 vcc, 0, v12
	buffer_wbl2 sc1
	s_waitcnt vmcnt(0)
	buffer_inv sc1
	s_and_b64 exec, exec, vcc
	s_cbranch_execz .LBB5_82
; %bb.81:
	v_lshl_add_u64 v[0:1], v[2:3], 2, s[12:13]
	v_mov_b32_e32 v2, 1
	buffer_wbl2 sc1
	global_store_dword v[0:1], v2, off sc1
.LBB5_82:
	s_endpgm
	.section	.rodata,"a",@progbits
	.p2align	6, 0x0
	.amdhsa_kernel _ZN9rocsparseL12csrilu0_hashILj256ELj32ELj16EfEEviPKiS2_PT2_S2_PiS2_S5_S5_d21rocsparse_index_base_imNS_24const_host_device_scalarIfEENS7_IdEENS7_IS3_EEb
		.amdhsa_group_segment_fixed_size 32768
		.amdhsa_private_segment_fixed_size 0
		.amdhsa_kernarg_size 124
		.amdhsa_user_sgpr_count 2
		.amdhsa_user_sgpr_dispatch_ptr 0
		.amdhsa_user_sgpr_queue_ptr 0
		.amdhsa_user_sgpr_kernarg_segment_ptr 1
		.amdhsa_user_sgpr_dispatch_id 0
		.amdhsa_user_sgpr_kernarg_preload_length 0
		.amdhsa_user_sgpr_kernarg_preload_offset 0
		.amdhsa_user_sgpr_private_segment_size 0
		.amdhsa_uses_dynamic_stack 0
		.amdhsa_enable_private_segment 0
		.amdhsa_system_sgpr_workgroup_id_x 1
		.amdhsa_system_sgpr_workgroup_id_y 0
		.amdhsa_system_sgpr_workgroup_id_z 0
		.amdhsa_system_sgpr_workgroup_info 0
		.amdhsa_system_vgpr_workitem_id 0
		.amdhsa_next_free_vgpr 81
		.amdhsa_next_free_sgpr 96
		.amdhsa_accum_offset 24
		.amdhsa_reserve_vcc 1
		.amdhsa_float_round_mode_32 0
		.amdhsa_float_round_mode_16_64 0
		.amdhsa_float_denorm_mode_32 3
		.amdhsa_float_denorm_mode_16_64 3
		.amdhsa_dx10_clamp 1
		.amdhsa_ieee_mode 1
		.amdhsa_fp16_overflow 0
		.amdhsa_tg_split 0
		.amdhsa_exception_fp_ieee_invalid_op 0
		.amdhsa_exception_fp_denorm_src 0
		.amdhsa_exception_fp_ieee_div_zero 0
		.amdhsa_exception_fp_ieee_overflow 0
		.amdhsa_exception_fp_ieee_underflow 0
		.amdhsa_exception_fp_ieee_inexact 0
		.amdhsa_exception_int_div_zero 0
	.end_amdhsa_kernel
	.section	.text._ZN9rocsparseL12csrilu0_hashILj256ELj32ELj16EfEEviPKiS2_PT2_S2_PiS2_S5_S5_d21rocsparse_index_base_imNS_24const_host_device_scalarIfEENS7_IdEENS7_IS3_EEb,"axG",@progbits,_ZN9rocsparseL12csrilu0_hashILj256ELj32ELj16EfEEviPKiS2_PT2_S2_PiS2_S5_S5_d21rocsparse_index_base_imNS_24const_host_device_scalarIfEENS7_IdEENS7_IS3_EEb,comdat
.Lfunc_end5:
	.size	_ZN9rocsparseL12csrilu0_hashILj256ELj32ELj16EfEEviPKiS2_PT2_S2_PiS2_S5_S5_d21rocsparse_index_base_imNS_24const_host_device_scalarIfEENS7_IdEENS7_IS3_EEb, .Lfunc_end5-_ZN9rocsparseL12csrilu0_hashILj256ELj32ELj16EfEEviPKiS2_PT2_S2_PiS2_S5_S5_d21rocsparse_index_base_imNS_24const_host_device_scalarIfEENS7_IdEENS7_IS3_EEb
                                        ; -- End function
	.set _ZN9rocsparseL12csrilu0_hashILj256ELj32ELj16EfEEviPKiS2_PT2_S2_PiS2_S5_S5_d21rocsparse_index_base_imNS_24const_host_device_scalarIfEENS7_IdEENS7_IS3_EEb.num_vgpr, 24
	.set _ZN9rocsparseL12csrilu0_hashILj256ELj32ELj16EfEEviPKiS2_PT2_S2_PiS2_S5_S5_d21rocsparse_index_base_imNS_24const_host_device_scalarIfEENS7_IdEENS7_IS3_EEb.num_agpr, 0
	.set _ZN9rocsparseL12csrilu0_hashILj256ELj32ELj16EfEEviPKiS2_PT2_S2_PiS2_S5_S5_d21rocsparse_index_base_imNS_24const_host_device_scalarIfEENS7_IdEENS7_IS3_EEb.numbered_sgpr, 62
	.set _ZN9rocsparseL12csrilu0_hashILj256ELj32ELj16EfEEviPKiS2_PT2_S2_PiS2_S5_S5_d21rocsparse_index_base_imNS_24const_host_device_scalarIfEENS7_IdEENS7_IS3_EEb.num_named_barrier, 0
	.set _ZN9rocsparseL12csrilu0_hashILj256ELj32ELj16EfEEviPKiS2_PT2_S2_PiS2_S5_S5_d21rocsparse_index_base_imNS_24const_host_device_scalarIfEENS7_IdEENS7_IS3_EEb.private_seg_size, 0
	.set _ZN9rocsparseL12csrilu0_hashILj256ELj32ELj16EfEEviPKiS2_PT2_S2_PiS2_S5_S5_d21rocsparse_index_base_imNS_24const_host_device_scalarIfEENS7_IdEENS7_IS3_EEb.uses_vcc, 1
	.set _ZN9rocsparseL12csrilu0_hashILj256ELj32ELj16EfEEviPKiS2_PT2_S2_PiS2_S5_S5_d21rocsparse_index_base_imNS_24const_host_device_scalarIfEENS7_IdEENS7_IS3_EEb.uses_flat_scratch, 0
	.set _ZN9rocsparseL12csrilu0_hashILj256ELj32ELj16EfEEviPKiS2_PT2_S2_PiS2_S5_S5_d21rocsparse_index_base_imNS_24const_host_device_scalarIfEENS7_IdEENS7_IS3_EEb.has_dyn_sized_stack, 0
	.set _ZN9rocsparseL12csrilu0_hashILj256ELj32ELj16EfEEviPKiS2_PT2_S2_PiS2_S5_S5_d21rocsparse_index_base_imNS_24const_host_device_scalarIfEENS7_IdEENS7_IS3_EEb.has_recursion, 0
	.set _ZN9rocsparseL12csrilu0_hashILj256ELj32ELj16EfEEviPKiS2_PT2_S2_PiS2_S5_S5_d21rocsparse_index_base_imNS_24const_host_device_scalarIfEENS7_IdEENS7_IS3_EEb.has_indirect_call, 0
	.section	.AMDGPU.csdata,"",@progbits
; Kernel info:
; codeLenInByte = 2500
; TotalNumSgprs: 68
; NumVgprs: 24
; NumAgprs: 0
; TotalNumVgprs: 24
; ScratchSize: 0
; MemoryBound: 0
; FloatMode: 240
; IeeeMode: 1
; LDSByteSize: 32768 bytes/workgroup (compile time only)
; SGPRBlocks: 12
; VGPRBlocks: 10
; NumSGPRsForWavesPerEU: 102
; NumVGPRsForWavesPerEU: 81
; AccumOffset: 24
; Occupancy: 5
; WaveLimiterHint : 1
; COMPUTE_PGM_RSRC2:SCRATCH_EN: 0
; COMPUTE_PGM_RSRC2:USER_SGPR: 2
; COMPUTE_PGM_RSRC2:TRAP_HANDLER: 0
; COMPUTE_PGM_RSRC2:TGID_X_EN: 1
; COMPUTE_PGM_RSRC2:TGID_Y_EN: 0
; COMPUTE_PGM_RSRC2:TGID_Z_EN: 0
; COMPUTE_PGM_RSRC2:TIDIG_COMP_CNT: 0
; COMPUTE_PGM_RSRC3_GFX90A:ACCUM_OFFSET: 5
; COMPUTE_PGM_RSRC3_GFX90A:TG_SPLIT: 0
	.section	.text._ZN9rocsparseL17csrilu0_binsearchILj256ELj32ELb0EfEEviPKiS2_PT2_S2_PiS2_S5_S5_d21rocsparse_index_base_imNS_24const_host_device_scalarIfEENS7_IdEENS7_IS3_EEb,"axG",@progbits,_ZN9rocsparseL17csrilu0_binsearchILj256ELj32ELb0EfEEviPKiS2_PT2_S2_PiS2_S5_S5_d21rocsparse_index_base_imNS_24const_host_device_scalarIfEENS7_IdEENS7_IS3_EEb,comdat
	.globl	_ZN9rocsparseL17csrilu0_binsearchILj256ELj32ELb0EfEEviPKiS2_PT2_S2_PiS2_S5_S5_d21rocsparse_index_base_imNS_24const_host_device_scalarIfEENS7_IdEENS7_IS3_EEb ; -- Begin function _ZN9rocsparseL17csrilu0_binsearchILj256ELj32ELb0EfEEviPKiS2_PT2_S2_PiS2_S5_S5_d21rocsparse_index_base_imNS_24const_host_device_scalarIfEENS7_IdEENS7_IS3_EEb
	.p2align	8
	.type	_ZN9rocsparseL17csrilu0_binsearchILj256ELj32ELb0EfEEviPKiS2_PT2_S2_PiS2_S5_S5_d21rocsparse_index_base_imNS_24const_host_device_scalarIfEENS7_IdEENS7_IS3_EEb,@function
_ZN9rocsparseL17csrilu0_binsearchILj256ELj32ELb0EfEEviPKiS2_PT2_S2_PiS2_S5_S5_d21rocsparse_index_base_imNS_24const_host_device_scalarIfEENS7_IdEENS7_IS3_EEb: ; @_ZN9rocsparseL17csrilu0_binsearchILj256ELj32ELb0EfEEviPKiS2_PT2_S2_PiS2_S5_S5_d21rocsparse_index_base_imNS_24const_host_device_scalarIfEENS7_IdEENS7_IS3_EEb
; %bb.0:
	s_load_dword s3, s[0:1], 0x78
	s_load_dwordx2 s[28:29], s[0:1], 0x50
	s_load_dwordx8 s[20:27], s[0:1], 0x58
	s_waitcnt lgkmcnt(0)
	s_bitcmp1_b32 s3, 0
	s_cselect_b64 s[4:5], -1, 0
	s_cmp_eq_u32 s29, 0
	s_cselect_b64 s[6:7], -1, 0
	s_cmp_lg_u32 s29, 0
	s_cselect_b64 s[30:31], -1, 0
	s_or_b64 s[4:5], s[6:7], s[4:5]
	s_xor_b64 s[8:9], s[4:5], -1
	s_and_b64 s[10:11], s[6:7], exec
	s_cselect_b32 s11, 0, s25
	s_cselect_b32 s10, 0, s24
	s_and_b64 vcc, exec, s[4:5]
	s_cbranch_vccnz .LBB6_2
; %bb.1:
	s_load_dword s3, s[22:23], 0x0
	s_mov_b64 s[10:11], s[24:25]
	s_waitcnt lgkmcnt(0)
	v_mov_b32_e32 v15, s3
	s_branch .LBB6_3
.LBB6_2:
	v_mov_b32_e32 v1, s22
	v_cndmask_b32_e64 v15, v1, 0, s[6:7]
.LBB6_3:
	v_cndmask_b32_e64 v1, 0, 1, s[8:9]
	v_cmp_ne_u32_e64 s[4:5], 1, v1
	s_andn2_b64 vcc, exec, s[8:9]
	v_mov_b64_e32 v[4:5], s[10:11]
	s_cbranch_vccnz .LBB6_5
; %bb.4:
	v_mov_b64_e32 v[2:3], s[24:25]
	flat_load_dwordx2 v[4:5], v[2:3]
.LBB6_5:
	s_and_b64 vcc, exec, s[4:5]
	s_cbranch_vccnz .LBB6_7
; %bb.6:
	s_load_dword s3, s[26:27], 0x0
	s_waitcnt lgkmcnt(0)
	v_mov_b32_e32 v16, s3
	s_branch .LBB6_8
.LBB6_7:
	v_mov_b32_e32 v1, s26
	v_cndmask_b32_e64 v16, v1, 0, s[6:7]
.LBB6_8:
	s_load_dword s3, s[0:1], 0x0
	s_lshl_b32 s2, s2, 3
	v_lshrrev_b32_e32 v1, 5, v0
	s_and_b32 s2, s2, 0x7fffff8
	v_or_b32_e32 v1, s2, v1
	s_waitcnt lgkmcnt(0)
	v_cmp_gt_i32_e32 vcc, s3, v1
	s_and_saveexec_b64 s[2:3], vcc
	s_cbranch_execz .LBB6_44
; %bb.9:
	s_load_dwordx16 s[4:19], s[0:1], 0x8
	v_lshlrev_b32_e32 v1, 2, v1
	v_and_b32_e32 v14, 31, v0
	s_waitcnt lgkmcnt(0)
	global_load_dword v2, v1, s[14:15]
	s_waitcnt vmcnt(0)
	v_ashrrev_i32_e32 v3, 31, v2
	v_lshlrev_b64 v[6:7], 2, v[2:3]
	v_lshl_add_u64 v[8:9], s[4:5], 0, v[6:7]
	v_lshl_add_u64 v[10:11], s[10:11], 0, v[6:7]
	global_load_dword v1, v[8:9], off
	global_load_dword v6, v[10:11], off
	s_waitcnt vmcnt(1)
	v_subrev_u32_e32 v0, s28, v1
	s_waitcnt vmcnt(0)
	v_cmp_lt_i32_e32 vcc, v0, v6
	s_and_saveexec_b64 s[2:3], vcc
	s_cbranch_execz .LBB6_26
; %bb.10:
	global_load_dword v1, v[8:9], off offset:4
	v_add_u32_e32 v7, 1, v14
	s_mov_b64 s[14:15], 0
	s_waitcnt vmcnt(0)
	v_xad_u32 v17, s28, -1, v1
	s_branch .LBB6_13
.LBB6_11:                               ;   in Loop: Header=BB6_13 Depth=1
	s_or_b64 exec, exec, s[24:25]
	v_cmp_ge_i32_e32 vcc, v0, v6
	s_orn2_b64 s[24:25], vcc, exec
.LBB6_12:                               ;   in Loop: Header=BB6_13 Depth=1
	s_or_b64 exec, exec, s[22:23]
	s_and_b64 s[22:23], exec, s[24:25]
	s_or_b64 s[14:15], s[22:23], s[14:15]
	s_andn2_b64 exec, exec, s[14:15]
	s_cbranch_execz .LBB6_26
.LBB6_13:                               ; =>This Loop Header: Depth=1
                                        ;     Child Loop BB6_15 Depth 2
                                        ;     Child Loop BB6_20 Depth 2
                                        ;       Child Loop BB6_22 Depth 3
	v_ashrrev_i32_e32 v1, 31, v0
	v_lshlrev_b64 v[8:9], 2, v[0:1]
	v_lshl_add_u64 v[10:11], s[6:7], 0, v[8:9]
	global_load_dword v1, v[10:11], off
	v_lshl_add_u64 v[8:9], s[8:9], 0, v[8:9]
	global_load_dword v12, v[8:9], off
	s_waitcnt vmcnt(1)
	v_subrev_u32_e32 v10, s28, v1
	v_ashrrev_i32_e32 v11, 31, v10
	v_lshlrev_b64 v[10:11], 2, v[10:11]
	v_lshl_add_u64 v[18:19], s[4:5], 0, v[10:11]
	v_lshl_add_u64 v[20:21], s[10:11], 0, v[10:11]
	;; [unrolled: 1-line block ×3, first 2 shown]
	global_load_dword v1, v[18:19], off offset:4
	global_load_dword v13, v[20:21], off
	global_load_dword v22, v[10:11], off sc1
	s_waitcnt vmcnt(0)
	v_cmp_eq_u32_e32 vcc, 0, v22
	s_and_saveexec_b64 s[22:23], vcc
	s_cbranch_execz .LBB6_16
; %bb.14:                               ;   in Loop: Header=BB6_13 Depth=1
	s_mov_b64 s[24:25], 0
.LBB6_15:                               ;   Parent Loop BB6_13 Depth=1
                                        ; =>  This Inner Loop Header: Depth=2
	global_load_dword v18, v[10:11], off sc1
	s_waitcnt vmcnt(0)
	v_cmp_ne_u32_e32 vcc, 0, v18
	s_or_b64 s[24:25], vcc, s[24:25]
	s_andn2_b64 exec, exec, s[24:25]
	s_cbranch_execnz .LBB6_15
.LBB6_16:                               ;   in Loop: Header=BB6_13 Depth=1
	s_or_b64 exec, exec, s[22:23]
	v_subrev_u32_e32 v1, s28, v1
	v_add_u32_e32 v10, -1, v1
	v_cmp_eq_u32_e32 vcc, -1, v13
	buffer_inv sc1
	s_mov_b64 s[24:25], -1
	v_cndmask_b32_e32 v10, v13, v10, vcc
	v_ashrrev_i32_e32 v11, 31, v10
	v_lshl_add_u64 v[18:19], v[10:11], 2, s[8:9]
	global_load_dword v11, v[18:19], off
	s_waitcnt vmcnt(0)
	v_cmp_neq_f32_e32 vcc, 0, v11
	s_and_saveexec_b64 s[22:23], vcc
	s_xor_b64 s[22:23], exec, s[22:23]
	s_cbranch_execz .LBB6_12
; %bb.17:                               ;   in Loop: Header=BB6_13 Depth=1
	v_div_scale_f32 v13, s[24:25], v11, v11, v12
	v_rcp_f32_e32 v18, v13
	v_div_scale_f32 v19, vcc, v12, v11, v12
	v_add_u32_e32 v0, 1, v0
	v_fma_f32 v20, -v13, v18, 1.0
	v_fmac_f32_e32 v18, v20, v18
	v_mul_f32_e32 v20, v19, v18
	v_fma_f32 v21, -v13, v20, v19
	v_fmac_f32_e32 v20, v21, v18
	v_fma_f32 v13, -v13, v20, v19
	v_div_fmas_f32 v13, v13, v18, v20
	v_div_fixup_f32 v18, v13, v11, v12
	global_store_dword v[8:9], v18, off
	v_add_u32_e32 v8, v7, v10
	v_cmp_lt_i32_e32 vcc, v8, v1
	s_and_saveexec_b64 s[24:25], vcc
	s_cbranch_execz .LBB6_11
; %bb.18:                               ;   in Loop: Header=BB6_13 Depth=1
	s_mov_b64 s[26:27], 0
	v_mov_b32_e32 v10, v0
	s_branch .LBB6_20
.LBB6_19:                               ;   in Loop: Header=BB6_20 Depth=2
	s_or_b64 exec, exec, s[34:35]
	v_add_u32_e32 v8, 32, v8
	v_cmp_ge_i32_e32 vcc, v8, v1
	s_or_b64 s[26:27], vcc, s[26:27]
	s_andn2_b64 exec, exec, s[26:27]
	s_cbranch_execz .LBB6_11
.LBB6_20:                               ;   Parent Loop BB6_13 Depth=1
                                        ; =>  This Loop Header: Depth=2
                                        ;       Child Loop BB6_22 Depth 3
	v_add_u32_e32 v11, v10, v17
	v_ashrrev_i32_e32 v9, 31, v8
	v_ashrrev_i32_e32 v12, 1, v11
	v_lshl_add_u64 v[20:21], v[8:9], 2, s[6:7]
	v_ashrrev_i32_e32 v13, 31, v12
	v_lshl_add_u64 v[22:23], v[12:13], 2, s[6:7]
	global_load_dword v11, v[20:21], off
	global_load_dword v13, v[22:23], off
	v_cmp_lt_i32_e32 vcc, v10, v17
	s_and_saveexec_b64 s[34:35], vcc
	s_cbranch_execz .LBB6_24
; %bb.21:                               ;   in Loop: Header=BB6_20 Depth=2
	s_mov_b64 s[36:37], 0
	v_mov_b32_e32 v19, v17
.LBB6_22:                               ;   Parent Loop BB6_13 Depth=1
                                        ;     Parent Loop BB6_20 Depth=2
                                        ; =>    This Inner Loop Header: Depth=3
	v_add_u32_e32 v20, 1, v12
	s_waitcnt vmcnt(0)
	v_cmp_lt_i32_e32 vcc, v13, v11
	s_nop 1
	v_cndmask_b32_e32 v19, v12, v19, vcc
	v_cndmask_b32_e32 v10, v10, v20, vcc
	v_add_u32_e32 v12, v19, v10
	v_ashrrev_i32_e32 v12, 1, v12
	v_ashrrev_i32_e32 v13, 31, v12
	v_lshl_add_u64 v[20:21], v[12:13], 2, s[6:7]
	global_load_dword v13, v[20:21], off
	v_cmp_ge_i32_e32 vcc, v10, v19
	s_or_b64 s[36:37], vcc, s[36:37]
	s_andn2_b64 exec, exec, s[36:37]
	s_cbranch_execnz .LBB6_22
; %bb.23:                               ;   in Loop: Header=BB6_20 Depth=2
	s_or_b64 exec, exec, s[36:37]
.LBB6_24:                               ;   in Loop: Header=BB6_20 Depth=2
	s_or_b64 exec, exec, s[34:35]
	s_waitcnt vmcnt(0)
	v_cmp_eq_u32_e32 vcc, v13, v11
	s_and_saveexec_b64 s[34:35], vcc
	s_cbranch_execz .LBB6_19
; %bb.25:                               ;   in Loop: Header=BB6_20 Depth=2
	v_lshl_add_u64 v[12:13], v[8:9], 2, s[8:9]
	v_ashrrev_i32_e32 v11, 31, v10
	v_lshl_add_u64 v[20:21], v[10:11], 2, s[8:9]
	global_load_dword v9, v[12:13], off
	global_load_dword v11, v[20:21], off
	s_waitcnt vmcnt(0)
	v_fma_f32 v9, -v18, v9, v11
	global_store_dword v[20:21], v9, off
	s_branch .LBB6_19
.LBB6_26:
	s_or_b64 exec, exec, s[2:3]
	v_cmp_lt_i32_e32 vcc, -1, v6
	s_and_saveexec_b64 s[6:7], vcc
	s_cbranch_execz .LBB6_42
; %bb.27:
	v_mov_b32_e32 v7, 0
	v_lshl_add_u64 v[6:7], v[6:7], 2, s[8:9]
	global_load_dword v8, v[6:7], off
	v_cmp_eq_u32_e64 s[2:3], 0, v14
	s_andn2_b64 vcc, exec, s[30:31]
	s_waitcnt vmcnt(0)
	v_cmp_gt_f32_e64 s[4:5], 0, v8
	s_nop 1
	v_cndmask_b32_e64 v0, v8, -v8, s[4:5]
	v_cvt_f64_f32_e32 v[0:1], v0
	s_mov_b64 s[4:5], -1
	s_cbranch_vccnz .LBB6_31
; %bb.28:
	s_cmp_eq_u64 s[20:21], 8
	v_cvt_f64_f32_e32 v[10:11], v15
	s_cselect_b64 vcc, -1, 0
	v_cndmask_b32_e32 v5, v11, v5, vcc
	v_cndmask_b32_e32 v4, v10, v4, vcc
	v_cmp_ge_f64_e32 vcc, v[4:5], v[0:1]
	s_and_b64 s[8:9], s[2:3], vcc
	s_and_saveexec_b64 s[4:5], s[8:9]
	s_cbranch_execz .LBB6_30
; %bb.29:
	global_store_dword v[6:7], v16, off
.LBB6_30:
	s_or_b64 exec, exec, s[4:5]
	s_mov_b64 s[4:5], 0
.LBB6_31:
	s_andn2_b64 vcc, exec, s[4:5]
	s_cbranch_vccnz .LBB6_42
; %bb.32:
	s_load_dwordx2 s[0:1], s[0:1], 0x48
	s_waitcnt lgkmcnt(0)
	v_cmp_ge_f64_e32 vcc, s[0:1], v[0:1]
	s_and_b64 s[4:5], s[2:3], vcc
	v_add_u32_e32 v0, s28, v2
	s_and_saveexec_b64 s[0:1], s[4:5]
	s_cbranch_execz .LBB6_37
; %bb.33:
	s_mov_b64 s[4:5], exec
	s_brev_b32 s8, -2
.LBB6_34:                               ; =>This Inner Loop Header: Depth=1
	s_ff1_i32_b64 s9, s[4:5]
	v_readlane_b32 s14, v0, s9
	s_lshl_b64 s[10:11], 1, s9
	s_min_i32 s8, s8, s14
	s_andn2_b64 s[4:5], s[4:5], s[10:11]
	s_cmp_lg_u64 s[4:5], 0
	s_cbranch_scc1 .LBB6_34
; %bb.35:
	v_mbcnt_lo_u32_b32 v1, exec_lo, 0
	v_mbcnt_hi_u32_b32 v1, exec_hi, v1
	v_cmp_eq_u32_e32 vcc, 0, v1
	s_and_saveexec_b64 s[4:5], vcc
	s_xor_b64 s[4:5], exec, s[4:5]
	s_cbranch_execz .LBB6_37
; %bb.36:
	v_mov_b32_e32 v1, 0
	v_mov_b32_e32 v4, s8
	global_atomic_smin v1, v4, s[18:19]
.LBB6_37:
	s_or_b64 exec, exec, s[0:1]
	v_cmp_eq_f32_e32 vcc, 0, v8
	s_and_b64 s[0:1], s[2:3], vcc
	s_and_b64 exec, exec, s[0:1]
	s_cbranch_execz .LBB6_42
; %bb.38:
	s_mov_b64 s[0:1], exec
	s_brev_b32 s2, -2
.LBB6_39:                               ; =>This Inner Loop Header: Depth=1
	s_ff1_i32_b64 s3, s[0:1]
	v_readlane_b32 s8, v0, s3
	s_lshl_b64 s[4:5], 1, s3
	s_min_i32 s2, s2, s8
	s_andn2_b64 s[0:1], s[0:1], s[4:5]
	s_cmp_lg_u64 s[0:1], 0
	s_cbranch_scc1 .LBB6_39
; %bb.40:
	v_mbcnt_lo_u32_b32 v0, exec_lo, 0
	v_mbcnt_hi_u32_b32 v0, exec_hi, v0
	v_cmp_eq_u32_e32 vcc, 0, v0
	s_and_saveexec_b64 s[0:1], vcc
	s_xor_b64 s[0:1], exec, s[0:1]
	s_cbranch_execz .LBB6_42
; %bb.41:
	v_mov_b32_e32 v0, 0
	v_mov_b32_e32 v1, s2
	global_atomic_smin v0, v1, s[16:17]
.LBB6_42:
	s_or_b64 exec, exec, s[6:7]
	v_cmp_eq_u32_e32 vcc, 0, v14
	buffer_wbl2 sc1
	s_waitcnt vmcnt(0)
	buffer_inv sc1
	s_and_b64 exec, exec, vcc
	s_cbranch_execz .LBB6_44
; %bb.43:
	v_lshl_add_u64 v[0:1], v[2:3], 2, s[12:13]
	v_mov_b32_e32 v2, 1
	buffer_wbl2 sc1
	global_store_dword v[0:1], v2, off sc1
.LBB6_44:
	s_endpgm
	.section	.rodata,"a",@progbits
	.p2align	6, 0x0
	.amdhsa_kernel _ZN9rocsparseL17csrilu0_binsearchILj256ELj32ELb0EfEEviPKiS2_PT2_S2_PiS2_S5_S5_d21rocsparse_index_base_imNS_24const_host_device_scalarIfEENS7_IdEENS7_IS3_EEb
		.amdhsa_group_segment_fixed_size 0
		.amdhsa_private_segment_fixed_size 0
		.amdhsa_kernarg_size 124
		.amdhsa_user_sgpr_count 2
		.amdhsa_user_sgpr_dispatch_ptr 0
		.amdhsa_user_sgpr_queue_ptr 0
		.amdhsa_user_sgpr_kernarg_segment_ptr 1
		.amdhsa_user_sgpr_dispatch_id 0
		.amdhsa_user_sgpr_kernarg_preload_length 0
		.amdhsa_user_sgpr_kernarg_preload_offset 0
		.amdhsa_user_sgpr_private_segment_size 0
		.amdhsa_uses_dynamic_stack 0
		.amdhsa_enable_private_segment 0
		.amdhsa_system_sgpr_workgroup_id_x 1
		.amdhsa_system_sgpr_workgroup_id_y 0
		.amdhsa_system_sgpr_workgroup_id_z 0
		.amdhsa_system_sgpr_workgroup_info 0
		.amdhsa_system_vgpr_workitem_id 0
		.amdhsa_next_free_vgpr 24
		.amdhsa_next_free_sgpr 38
		.amdhsa_accum_offset 24
		.amdhsa_reserve_vcc 1
		.amdhsa_float_round_mode_32 0
		.amdhsa_float_round_mode_16_64 0
		.amdhsa_float_denorm_mode_32 3
		.amdhsa_float_denorm_mode_16_64 3
		.amdhsa_dx10_clamp 1
		.amdhsa_ieee_mode 1
		.amdhsa_fp16_overflow 0
		.amdhsa_tg_split 0
		.amdhsa_exception_fp_ieee_invalid_op 0
		.amdhsa_exception_fp_denorm_src 0
		.amdhsa_exception_fp_ieee_div_zero 0
		.amdhsa_exception_fp_ieee_overflow 0
		.amdhsa_exception_fp_ieee_underflow 0
		.amdhsa_exception_fp_ieee_inexact 0
		.amdhsa_exception_int_div_zero 0
	.end_amdhsa_kernel
	.section	.text._ZN9rocsparseL17csrilu0_binsearchILj256ELj32ELb0EfEEviPKiS2_PT2_S2_PiS2_S5_S5_d21rocsparse_index_base_imNS_24const_host_device_scalarIfEENS7_IdEENS7_IS3_EEb,"axG",@progbits,_ZN9rocsparseL17csrilu0_binsearchILj256ELj32ELb0EfEEviPKiS2_PT2_S2_PiS2_S5_S5_d21rocsparse_index_base_imNS_24const_host_device_scalarIfEENS7_IdEENS7_IS3_EEb,comdat
.Lfunc_end6:
	.size	_ZN9rocsparseL17csrilu0_binsearchILj256ELj32ELb0EfEEviPKiS2_PT2_S2_PiS2_S5_S5_d21rocsparse_index_base_imNS_24const_host_device_scalarIfEENS7_IdEENS7_IS3_EEb, .Lfunc_end6-_ZN9rocsparseL17csrilu0_binsearchILj256ELj32ELb0EfEEviPKiS2_PT2_S2_PiS2_S5_S5_d21rocsparse_index_base_imNS_24const_host_device_scalarIfEENS7_IdEENS7_IS3_EEb
                                        ; -- End function
	.set _ZN9rocsparseL17csrilu0_binsearchILj256ELj32ELb0EfEEviPKiS2_PT2_S2_PiS2_S5_S5_d21rocsparse_index_base_imNS_24const_host_device_scalarIfEENS7_IdEENS7_IS3_EEb.num_vgpr, 24
	.set _ZN9rocsparseL17csrilu0_binsearchILj256ELj32ELb0EfEEviPKiS2_PT2_S2_PiS2_S5_S5_d21rocsparse_index_base_imNS_24const_host_device_scalarIfEENS7_IdEENS7_IS3_EEb.num_agpr, 0
	.set _ZN9rocsparseL17csrilu0_binsearchILj256ELj32ELb0EfEEviPKiS2_PT2_S2_PiS2_S5_S5_d21rocsparse_index_base_imNS_24const_host_device_scalarIfEENS7_IdEENS7_IS3_EEb.numbered_sgpr, 38
	.set _ZN9rocsparseL17csrilu0_binsearchILj256ELj32ELb0EfEEviPKiS2_PT2_S2_PiS2_S5_S5_d21rocsparse_index_base_imNS_24const_host_device_scalarIfEENS7_IdEENS7_IS3_EEb.num_named_barrier, 0
	.set _ZN9rocsparseL17csrilu0_binsearchILj256ELj32ELb0EfEEviPKiS2_PT2_S2_PiS2_S5_S5_d21rocsparse_index_base_imNS_24const_host_device_scalarIfEENS7_IdEENS7_IS3_EEb.private_seg_size, 0
	.set _ZN9rocsparseL17csrilu0_binsearchILj256ELj32ELb0EfEEviPKiS2_PT2_S2_PiS2_S5_S5_d21rocsparse_index_base_imNS_24const_host_device_scalarIfEENS7_IdEENS7_IS3_EEb.uses_vcc, 1
	.set _ZN9rocsparseL17csrilu0_binsearchILj256ELj32ELb0EfEEviPKiS2_PT2_S2_PiS2_S5_S5_d21rocsparse_index_base_imNS_24const_host_device_scalarIfEENS7_IdEENS7_IS3_EEb.uses_flat_scratch, 0
	.set _ZN9rocsparseL17csrilu0_binsearchILj256ELj32ELb0EfEEviPKiS2_PT2_S2_PiS2_S5_S5_d21rocsparse_index_base_imNS_24const_host_device_scalarIfEENS7_IdEENS7_IS3_EEb.has_dyn_sized_stack, 0
	.set _ZN9rocsparseL17csrilu0_binsearchILj256ELj32ELb0EfEEviPKiS2_PT2_S2_PiS2_S5_S5_d21rocsparse_index_base_imNS_24const_host_device_scalarIfEENS7_IdEENS7_IS3_EEb.has_recursion, 0
	.set _ZN9rocsparseL17csrilu0_binsearchILj256ELj32ELb0EfEEviPKiS2_PT2_S2_PiS2_S5_S5_d21rocsparse_index_base_imNS_24const_host_device_scalarIfEENS7_IdEENS7_IS3_EEb.has_indirect_call, 0
	.section	.AMDGPU.csdata,"",@progbits
; Kernel info:
; codeLenInByte = 1432
; TotalNumSgprs: 44
; NumVgprs: 24
; NumAgprs: 0
; TotalNumVgprs: 24
; ScratchSize: 0
; MemoryBound: 0
; FloatMode: 240
; IeeeMode: 1
; LDSByteSize: 0 bytes/workgroup (compile time only)
; SGPRBlocks: 5
; VGPRBlocks: 2
; NumSGPRsForWavesPerEU: 44
; NumVGPRsForWavesPerEU: 24
; AccumOffset: 24
; Occupancy: 8
; WaveLimiterHint : 1
; COMPUTE_PGM_RSRC2:SCRATCH_EN: 0
; COMPUTE_PGM_RSRC2:USER_SGPR: 2
; COMPUTE_PGM_RSRC2:TRAP_HANDLER: 0
; COMPUTE_PGM_RSRC2:TGID_X_EN: 1
; COMPUTE_PGM_RSRC2:TGID_Y_EN: 0
; COMPUTE_PGM_RSRC2:TGID_Z_EN: 0
; COMPUTE_PGM_RSRC2:TIDIG_COMP_CNT: 0
; COMPUTE_PGM_RSRC3_GFX90A:ACCUM_OFFSET: 5
; COMPUTE_PGM_RSRC3_GFX90A:TG_SPLIT: 0
	.section	.text._ZN9rocsparseL12csrilu0_hashILj256ELj64ELj1EfEEviPKiS2_PT2_S2_PiS2_S5_S5_d21rocsparse_index_base_imNS_24const_host_device_scalarIfEENS7_IdEENS7_IS3_EEb,"axG",@progbits,_ZN9rocsparseL12csrilu0_hashILj256ELj64ELj1EfEEviPKiS2_PT2_S2_PiS2_S5_S5_d21rocsparse_index_base_imNS_24const_host_device_scalarIfEENS7_IdEENS7_IS3_EEb,comdat
	.globl	_ZN9rocsparseL12csrilu0_hashILj256ELj64ELj1EfEEviPKiS2_PT2_S2_PiS2_S5_S5_d21rocsparse_index_base_imNS_24const_host_device_scalarIfEENS7_IdEENS7_IS3_EEb ; -- Begin function _ZN9rocsparseL12csrilu0_hashILj256ELj64ELj1EfEEviPKiS2_PT2_S2_PiS2_S5_S5_d21rocsparse_index_base_imNS_24const_host_device_scalarIfEENS7_IdEENS7_IS3_EEb
	.p2align	8
	.type	_ZN9rocsparseL12csrilu0_hashILj256ELj64ELj1EfEEviPKiS2_PT2_S2_PiS2_S5_S5_d21rocsparse_index_base_imNS_24const_host_device_scalarIfEENS7_IdEENS7_IS3_EEb,@function
_ZN9rocsparseL12csrilu0_hashILj256ELj64ELj1EfEEviPKiS2_PT2_S2_PiS2_S5_S5_d21rocsparse_index_base_imNS_24const_host_device_scalarIfEENS7_IdEENS7_IS3_EEb: ; @_ZN9rocsparseL12csrilu0_hashILj256ELj64ELj1EfEEviPKiS2_PT2_S2_PiS2_S5_S5_d21rocsparse_index_base_imNS_24const_host_device_scalarIfEENS7_IdEENS7_IS3_EEb
; %bb.0:
	s_load_dword s3, s[0:1], 0x78
	s_load_dwordx2 s[28:29], s[0:1], 0x50
	s_load_dwordx8 s[20:27], s[0:1], 0x58
	s_waitcnt lgkmcnt(0)
	s_bitcmp1_b32 s3, 0
	s_cselect_b64 s[4:5], -1, 0
	s_cmp_eq_u32 s29, 0
	s_cselect_b64 s[6:7], -1, 0
	s_cmp_lg_u32 s29, 0
	s_cselect_b64 s[30:31], -1, 0
	s_or_b64 s[4:5], s[6:7], s[4:5]
	s_xor_b64 s[8:9], s[4:5], -1
	s_and_b64 s[10:11], s[6:7], exec
	s_cselect_b32 s11, 0, s25
	s_cselect_b32 s10, 0, s24
	s_and_b64 vcc, exec, s[4:5]
	s_cbranch_vccnz .LBB7_2
; %bb.1:
	s_load_dword s3, s[22:23], 0x0
	s_mov_b64 s[10:11], s[24:25]
	s_waitcnt lgkmcnt(0)
	v_mov_b32_e32 v13, s3
	s_branch .LBB7_3
.LBB7_2:
	v_mov_b32_e32 v1, s22
	v_cndmask_b32_e64 v13, v1, 0, s[6:7]
.LBB7_3:
	v_cndmask_b32_e64 v1, 0, 1, s[8:9]
	v_cmp_ne_u32_e64 s[4:5], 1, v1
	s_andn2_b64 vcc, exec, s[8:9]
	v_mov_b64_e32 v[2:3], s[10:11]
	s_cbranch_vccnz .LBB7_5
; %bb.4:
	v_mov_b64_e32 v[2:3], s[24:25]
	flat_load_dwordx2 v[2:3], v[2:3]
.LBB7_5:
	s_and_b64 vcc, exec, s[4:5]
	s_cbranch_vccnz .LBB7_7
; %bb.6:
	s_load_dword s3, s[26:27], 0x0
	s_waitcnt lgkmcnt(0)
	v_mov_b32_e32 v14, s3
	s_branch .LBB7_8
.LBB7_7:
	v_mov_b32_e32 v1, s26
	v_cndmask_b32_e64 v14, v1, 0, s[6:7]
.LBB7_8:
	s_load_dword s3, s[0:1], 0x0
	s_lshl_b32 s2, s2, 2
	v_and_b32_e32 v12, 63, v0
	v_and_b32_e32 v6, 0xc0, v0
	v_mov_b32_e32 v1, 0x400
	v_lshrrev_b32_e32 v0, 6, v0
	s_and_b32 s2, s2, 0x3fffffc
	v_lshl_or_b32 v5, v6, 2, v1
	v_or_b32_e32 v0, s2, v0
	v_lshl_or_b32 v1, v12, 2, v5
	v_mov_b32_e32 v4, -1
	s_waitcnt lgkmcnt(0)
	v_cmp_gt_i32_e32 vcc, s3, v0
	ds_write_b32 v1, v4
	s_waitcnt lgkmcnt(0)
	s_and_saveexec_b64 s[2:3], vcc
	s_cbranch_execz .LBB7_80
; %bb.9:
	s_load_dwordx16 s[4:19], s[0:1], 0x8
	v_lshlrev_b32_e32 v0, 2, v0
	v_lshlrev_b32_e32 v15, 2, v6
	s_waitcnt lgkmcnt(0)
	global_load_dword v0, v0, s[14:15]
	s_waitcnt vmcnt(0)
	v_ashrrev_i32_e32 v1, 31, v0
	v_lshlrev_b64 v[8:9], 2, v[0:1]
	v_lshl_add_u64 v[10:11], s[4:5], 0, v[8:9]
	global_load_dwordx2 v[10:11], v[10:11], off
	v_lshl_add_u64 v[8:9], s[10:11], 0, v[8:9]
	global_load_dword v4, v[8:9], off
	s_waitcnt vmcnt(1)
	v_subrev_u32_e32 v6, s28, v10
	v_subrev_u32_e32 v7, s28, v11
	v_add_u32_e32 v8, v6, v12
	v_cmp_lt_i32_e32 vcc, v8, v7
	s_and_saveexec_b64 s[2:3], vcc
	s_cbranch_execz .LBB7_32
; %bb.10:
	s_mov_b64 s[14:15], 0
	v_mov_b32_e32 v10, -1
	s_branch .LBB7_12
.LBB7_11:                               ;   in Loop: Header=BB7_12 Depth=1
	s_or_b64 exec, exec, s[22:23]
	v_add_u32_e32 v8, 64, v8
	v_cmp_ge_i32_e32 vcc, v8, v7
	s_or_b64 s[14:15], vcc, s[14:15]
	s_andn2_b64 exec, exec, s[14:15]
	s_cbranch_execz .LBB7_32
.LBB7_12:                               ; =>This Loop Header: Depth=1
                                        ;     Child Loop BB7_21 Depth 2
	v_ashrrev_i32_e32 v9, 31, v8
	v_lshl_add_u64 v[16:17], v[8:9], 2, s[6:7]
	global_load_dword v9, v[16:17], off
	v_mov_b32_e32 v11, 64
	s_mov_b64 s[24:25], 0
                                        ; implicit-def: $sgpr22_sgpr23
                                        ; implicit-def: $sgpr26_sgpr27
                                        ; implicit-def: $sgpr34_sgpr35
	s_waitcnt vmcnt(0)
	v_mul_lo_u32 v17, v9, 39
	s_branch .LBB7_21
.LBB7_13:                               ;   in Loop: Header=BB7_21 Depth=2
	s_or_b64 exec, exec, s[54:55]
	s_orn2_b64 s[50:51], s[50:51], exec
	s_orn2_b64 s[52:53], s[52:53], exec
.LBB7_14:                               ;   in Loop: Header=BB7_21 Depth=2
	s_or_b64 exec, exec, s[48:49]
	s_and_b64 s[50:51], s[50:51], exec
	s_orn2_b64 s[48:49], s[52:53], exec
.LBB7_15:                               ;   in Loop: Header=BB7_21 Depth=2
	s_or_b64 exec, exec, s[46:47]
	s_orn2_b64 s[50:51], s[50:51], exec
	s_orn2_b64 s[46:47], s[48:49], exec
.LBB7_16:                               ;   in Loop: Header=BB7_21 Depth=2
	s_or_b64 exec, exec, s[44:45]
	s_and_b64 s[48:49], s[50:51], exec
	s_orn2_b64 s[44:45], s[46:47], exec
.LBB7_17:                               ;   in Loop: Header=BB7_21 Depth=2
	s_or_b64 exec, exec, s[42:43]
	s_orn2_b64 s[42:43], s[48:49], exec
	s_orn2_b64 s[44:45], s[44:45], exec
.LBB7_18:                               ;   in Loop: Header=BB7_21 Depth=2
	s_or_b64 exec, exec, s[40:41]
	s_and_b64 s[42:43], s[42:43], exec
	s_orn2_b64 s[40:41], s[44:45], exec
.LBB7_19:                               ;   in Loop: Header=BB7_21 Depth=2
	s_or_b64 exec, exec, s[38:39]
	s_andn2_b64 s[34:35], s[34:35], exec
	s_and_b64 s[38:39], s[42:43], exec
	s_or_b64 s[34:35], s[34:35], s[38:39]
	s_andn2_b64 s[26:27], s[26:27], exec
	s_and_b64 s[38:39], s[40:41], exec
	s_or_b64 s[26:27], s[26:27], s[38:39]
.LBB7_20:                               ;   in Loop: Header=BB7_21 Depth=2
	s_or_b64 exec, exec, s[36:37]
	s_and_b64 s[36:37], exec, s[26:27]
	s_or_b64 s[24:25], s[36:37], s[24:25]
	s_andn2_b64 s[22:23], s[22:23], exec
	s_and_b64 s[36:37], s[34:35], exec
	s_or_b64 s[22:23], s[22:23], s[36:37]
	s_andn2_b64 exec, exec, s[24:25]
	s_cbranch_execz .LBB7_30
.LBB7_21:                               ;   Parent Loop BB7_12 Depth=1
                                        ; =>  This Inner Loop Header: Depth=2
	v_and_b32_e32 v16, 63, v17
	v_lshl_add_u32 v18, v16, 2, v5
	ds_read_b32 v19, v18
	s_or_b64 s[34:35], s[34:35], exec
	s_or_b64 s[26:27], s[26:27], exec
	s_waitcnt lgkmcnt(0)
	v_cmp_ne_u32_e32 vcc, v19, v9
	s_and_saveexec_b64 s[36:37], vcc
	s_cbranch_execz .LBB7_20
; %bb.22:                               ;   in Loop: Header=BB7_21 Depth=2
	ds_cmpst_rtn_b32 v18, v18, v10, v9
	s_mov_b64 s[40:41], -1
	s_mov_b64 s[42:43], 0
	s_waitcnt lgkmcnt(0)
	v_cmp_ne_u32_e32 vcc, -1, v18
	s_and_saveexec_b64 s[38:39], vcc
	s_cbranch_execz .LBB7_19
; %bb.23:                               ;   in Loop: Header=BB7_21 Depth=2
	v_add_u32_e32 v16, 1, v17
	v_and_b32_e32 v16, 63, v16
	v_lshl_add_u32 v18, v16, 2, v5
	ds_read_b32 v19, v18
	s_mov_b64 s[44:45], -1
	s_mov_b64 s[42:43], -1
	s_waitcnt lgkmcnt(0)
	v_cmp_ne_u32_e32 vcc, v19, v9
	s_and_saveexec_b64 s[40:41], vcc
	s_cbranch_execz .LBB7_18
; %bb.24:                               ;   in Loop: Header=BB7_21 Depth=2
	ds_cmpst_rtn_b32 v18, v18, v10, v9
	s_mov_b64 s[48:49], 0
	s_waitcnt lgkmcnt(0)
	v_cmp_ne_u32_e32 vcc, -1, v18
	s_and_saveexec_b64 s[42:43], vcc
	s_cbranch_execz .LBB7_17
; %bb.25:                               ;   in Loop: Header=BB7_21 Depth=2
	v_add_u32_e32 v16, 2, v17
	v_and_b32_e32 v16, 63, v16
	v_lshl_add_u32 v18, v16, 2, v5
	ds_read_b32 v19, v18
	s_mov_b64 s[46:47], -1
	s_mov_b64 s[50:51], -1
	s_waitcnt lgkmcnt(0)
	v_cmp_ne_u32_e32 vcc, v19, v9
	s_and_saveexec_b64 s[44:45], vcc
	s_cbranch_execz .LBB7_16
; %bb.26:                               ;   in Loop: Header=BB7_21 Depth=2
	ds_cmpst_rtn_b32 v18, v18, v10, v9
	s_mov_b64 s[48:49], -1
	s_mov_b64 s[50:51], 0
	s_waitcnt lgkmcnt(0)
	v_cmp_ne_u32_e32 vcc, -1, v18
	s_and_saveexec_b64 s[46:47], vcc
	s_cbranch_execz .LBB7_15
; %bb.27:                               ;   in Loop: Header=BB7_21 Depth=2
	v_add_u32_e32 v16, 3, v17
	v_and_b32_e32 v16, 63, v16
	v_lshl_add_u32 v18, v16, 2, v5
	ds_read_b32 v17, v18
	s_mov_b64 s[52:53], -1
	s_mov_b64 s[50:51], -1
	s_waitcnt lgkmcnt(0)
	v_cmp_ne_u32_e32 vcc, v17, v9
                                        ; implicit-def: $vgpr17
	s_and_saveexec_b64 s[48:49], vcc
	s_cbranch_execz .LBB7_14
; %bb.28:                               ;   in Loop: Header=BB7_21 Depth=2
	ds_cmpst_rtn_b32 v17, v18, v10, v9
	s_mov_b64 s[50:51], 0
	s_waitcnt lgkmcnt(0)
	v_cmp_ne_u32_e32 vcc, -1, v17
                                        ; implicit-def: $vgpr17
	s_and_saveexec_b64 s[54:55], vcc
	s_cbranch_execz .LBB7_13
; %bb.29:                               ;   in Loop: Header=BB7_21 Depth=2
	v_add_u32_e32 v11, -4, v11
	v_cmp_eq_u32_e32 vcc, 0, v11
	s_mov_b64 s[50:51], exec
	v_add_u32_e32 v17, 1, v16
	s_orn2_b64 s[52:53], vcc, exec
	s_branch .LBB7_13
.LBB7_30:                               ;   in Loop: Header=BB7_12 Depth=1
	s_or_b64 exec, exec, s[24:25]
	s_xor_b64 s[22:23], s[22:23], -1
	s_and_saveexec_b64 s[24:25], s[22:23]
	s_xor_b64 s[22:23], exec, s[24:25]
	s_cbranch_execz .LBB7_11
; %bb.31:                               ;   in Loop: Header=BB7_12 Depth=1
	v_lshl_add_u32 v9, v16, 2, v15
	ds_write_b32 v9, v8
	s_branch .LBB7_11
.LBB7_32:
	s_or_b64 exec, exec, s[2:3]
	s_waitcnt vmcnt(0)
	v_cmp_lt_i32_e32 vcc, v6, v4
	s_waitcnt lgkmcnt(0)
	s_and_saveexec_b64 s[2:3], vcc
	s_cbranch_execz .LBB7_62
; %bb.33:
	v_add_u32_e32 v16, 1, v12
	s_mov_b64 s[14:15], 0
	s_branch .LBB7_36
.LBB7_34:                               ;   in Loop: Header=BB7_36 Depth=1
	s_or_b64 exec, exec, s[24:25]
	v_add_u32_e32 v6, 1, v6
	v_cmp_ge_i32_e32 vcc, v6, v4
	s_orn2_b64 s[24:25], vcc, exec
.LBB7_35:                               ;   in Loop: Header=BB7_36 Depth=1
	s_or_b64 exec, exec, s[22:23]
	s_and_b64 s[22:23], exec, s[24:25]
	s_or_b64 s[14:15], s[22:23], s[14:15]
	s_andn2_b64 exec, exec, s[14:15]
	s_cbranch_execz .LBB7_62
.LBB7_36:                               ; =>This Loop Header: Depth=1
                                        ;     Child Loop BB7_37 Depth 2
                                        ;     Child Loop BB7_42 Depth 2
                                        ;       Child Loop BB7_51 Depth 3
	v_ashrrev_i32_e32 v7, 31, v6
	v_lshlrev_b64 v[8:9], 2, v[6:7]
	v_lshl_add_u64 v[10:11], s[6:7], 0, v[8:9]
	global_load_dword v7, v[10:11], off
	v_lshl_add_u64 v[8:9], s[8:9], 0, v[8:9]
	global_load_dword v17, v[8:9], off
	s_mov_b64 s[22:23], 0
	s_waitcnt vmcnt(1)
	v_subrev_u32_e32 v10, s28, v7
	v_ashrrev_i32_e32 v11, 31, v10
	v_lshlrev_b64 v[10:11], 2, v[10:11]
	v_lshl_add_u64 v[20:21], s[4:5], 0, v[10:11]
	v_lshl_add_u64 v[22:23], s[10:11], 0, v[10:11]
	global_load_dword v7, v[20:21], off offset:4
	global_load_dword v18, v[22:23], off
	v_lshl_add_u64 v[10:11], s[12:13], 0, v[10:11]
.LBB7_37:                               ;   Parent Loop BB7_36 Depth=1
                                        ; =>  This Inner Loop Header: Depth=2
	global_load_dword v19, v[10:11], off sc1
	s_waitcnt vmcnt(0)
	v_cmp_ne_u32_e32 vcc, 0, v19
	s_or_b64 s[22:23], vcc, s[22:23]
	s_andn2_b64 exec, exec, s[22:23]
	s_cbranch_execnz .LBB7_37
; %bb.38:                               ;   in Loop: Header=BB7_36 Depth=1
	s_or_b64 exec, exec, s[22:23]
	v_subrev_u32_e32 v7, s28, v7
	v_add_u32_e32 v10, -1, v7
	v_cmp_eq_u32_e32 vcc, -1, v18
	buffer_inv sc1
	s_mov_b64 s[24:25], -1
	v_cndmask_b32_e32 v10, v18, v10, vcc
	v_ashrrev_i32_e32 v11, 31, v10
	v_lshl_add_u64 v[18:19], v[10:11], 2, s[8:9]
	global_load_dword v11, v[18:19], off
	s_waitcnt vmcnt(0)
	v_cmp_neq_f32_e32 vcc, 0, v11
	s_and_saveexec_b64 s[22:23], vcc
	s_cbranch_execz .LBB7_35
; %bb.39:                               ;   in Loop: Header=BB7_36 Depth=1
	v_div_scale_f32 v18, s[24:25], v11, v11, v17
	v_rcp_f32_e32 v19, v18
	v_div_scale_f32 v20, vcc, v17, v11, v17
	v_fma_f32 v21, -v18, v19, 1.0
	v_fmac_f32_e32 v19, v21, v19
	v_mul_f32_e32 v21, v20, v19
	v_fma_f32 v22, -v18, v21, v20
	v_fmac_f32_e32 v21, v22, v19
	v_fma_f32 v18, -v18, v21, v20
	v_div_fmas_f32 v18, v18, v19, v21
	v_div_fixup_f32 v11, v18, v11, v17
	global_store_dword v[8:9], v11, off
	v_add_u32_e32 v8, v16, v10
	v_cmp_lt_i32_e32 vcc, v8, v7
	s_and_saveexec_b64 s[24:25], vcc
	s_cbranch_execz .LBB7_34
; %bb.40:                               ;   in Loop: Header=BB7_36 Depth=1
	s_mov_b64 s[26:27], 0
	s_branch .LBB7_42
.LBB7_41:                               ;   in Loop: Header=BB7_42 Depth=2
	s_or_b64 exec, exec, s[34:35]
	v_add_u32_e32 v8, 64, v8
	v_cmp_ge_i32_e32 vcc, v8, v7
	s_or_b64 s[26:27], vcc, s[26:27]
	s_andn2_b64 exec, exec, s[26:27]
	s_cbranch_execz .LBB7_34
.LBB7_42:                               ;   Parent Loop BB7_36 Depth=1
                                        ; =>  This Loop Header: Depth=2
                                        ;       Child Loop BB7_51 Depth 3
	v_ashrrev_i32_e32 v9, 31, v8
	v_lshl_add_u64 v[18:19], v[8:9], 2, s[6:7]
	global_load_dword v10, v[18:19], off
	v_mov_b32_e32 v17, 64
	s_mov_b64 s[36:37], 0
                                        ; implicit-def: $sgpr34_sgpr35
                                        ; implicit-def: $sgpr38_sgpr39
                                        ; implicit-def: $sgpr40_sgpr41
	s_waitcnt vmcnt(0)
	v_mul_lo_u32 v19, v10, 39
	s_branch .LBB7_51
.LBB7_43:                               ;   in Loop: Header=BB7_51 Depth=3
	s_or_b64 exec, exec, s[60:61]
	s_orn2_b64 s[56:57], s[56:57], exec
	s_orn2_b64 s[58:59], s[58:59], exec
.LBB7_44:                               ;   in Loop: Header=BB7_51 Depth=3
	s_or_b64 exec, exec, s[54:55]
	s_and_b64 s[56:57], s[56:57], exec
	s_orn2_b64 s[54:55], s[58:59], exec
.LBB7_45:                               ;   in Loop: Header=BB7_51 Depth=3
	s_or_b64 exec, exec, s[52:53]
	s_orn2_b64 s[56:57], s[56:57], exec
	s_orn2_b64 s[52:53], s[54:55], exec
.LBB7_46:                               ;   in Loop: Header=BB7_51 Depth=3
	s_or_b64 exec, exec, s[50:51]
	s_and_b64 s[54:55], s[56:57], exec
	s_orn2_b64 s[50:51], s[52:53], exec
.LBB7_47:                               ;   in Loop: Header=BB7_51 Depth=3
	s_or_b64 exec, exec, s[48:49]
	s_orn2_b64 s[48:49], s[54:55], exec
	s_orn2_b64 s[50:51], s[50:51], exec
.LBB7_48:                               ;   in Loop: Header=BB7_51 Depth=3
	s_or_b64 exec, exec, s[46:47]
	s_and_b64 s[48:49], s[48:49], exec
	s_orn2_b64 s[46:47], s[50:51], exec
.LBB7_49:                               ;   in Loop: Header=BB7_51 Depth=3
	s_or_b64 exec, exec, s[44:45]
	s_andn2_b64 s[40:41], s[40:41], exec
	s_and_b64 s[44:45], s[48:49], exec
	s_or_b64 s[40:41], s[40:41], s[44:45]
	s_andn2_b64 s[38:39], s[38:39], exec
	s_and_b64 s[44:45], s[46:47], exec
	s_or_b64 s[38:39], s[38:39], s[44:45]
.LBB7_50:                               ;   in Loop: Header=BB7_51 Depth=3
	s_or_b64 exec, exec, s[42:43]
	s_and_b64 s[42:43], exec, s[38:39]
	s_or_b64 s[36:37], s[42:43], s[36:37]
	s_andn2_b64 s[34:35], s[34:35], exec
	s_and_b64 s[42:43], s[40:41], exec
	s_or_b64 s[34:35], s[34:35], s[42:43]
	s_andn2_b64 exec, exec, s[36:37]
	s_cbranch_execz .LBB7_60
.LBB7_51:                               ;   Parent Loop BB7_36 Depth=1
                                        ;     Parent Loop BB7_42 Depth=2
                                        ; =>    This Inner Loop Header: Depth=3
	v_and_b32_e32 v18, 63, v19
	v_lshl_add_u32 v20, v18, 2, v5
	ds_read_b32 v20, v20
	s_or_b64 s[40:41], s[40:41], exec
	s_or_b64 s[38:39], s[38:39], exec
	s_waitcnt lgkmcnt(0)
	v_cmp_ne_u32_e32 vcc, -1, v20
	s_and_saveexec_b64 s[42:43], vcc
	s_cbranch_execz .LBB7_50
; %bb.52:                               ;   in Loop: Header=BB7_51 Depth=3
	v_cmp_ne_u32_e32 vcc, v20, v10
	s_mov_b64 s[46:47], -1
	s_mov_b64 s[48:49], 0
	s_and_saveexec_b64 s[44:45], vcc
	s_cbranch_execz .LBB7_49
; %bb.53:                               ;   in Loop: Header=BB7_51 Depth=3
	v_add_u32_e32 v18, 1, v19
	v_and_b32_e32 v18, 63, v18
	v_lshl_add_u32 v20, v18, 2, v5
	ds_read_b32 v20, v20
	s_mov_b64 s[50:51], -1
	s_mov_b64 s[48:49], -1
	s_waitcnt lgkmcnt(0)
	v_cmp_ne_u32_e32 vcc, -1, v20
	s_and_saveexec_b64 s[46:47], vcc
	s_cbranch_execz .LBB7_48
; %bb.54:                               ;   in Loop: Header=BB7_51 Depth=3
	v_cmp_ne_u32_e32 vcc, v20, v10
	s_mov_b64 s[54:55], 0
	s_and_saveexec_b64 s[48:49], vcc
	s_cbranch_execz .LBB7_47
; %bb.55:                               ;   in Loop: Header=BB7_51 Depth=3
	v_add_u32_e32 v18, 2, v19
	v_and_b32_e32 v18, 63, v18
	v_lshl_add_u32 v20, v18, 2, v5
	ds_read_b32 v20, v20
	s_mov_b64 s[52:53], -1
	s_mov_b64 s[56:57], -1
	s_waitcnt lgkmcnt(0)
	v_cmp_ne_u32_e32 vcc, -1, v20
	s_and_saveexec_b64 s[50:51], vcc
	s_cbranch_execz .LBB7_46
; %bb.56:                               ;   in Loop: Header=BB7_51 Depth=3
	v_cmp_ne_u32_e32 vcc, v20, v10
	s_mov_b64 s[54:55], -1
	s_mov_b64 s[56:57], 0
	s_and_saveexec_b64 s[52:53], vcc
	s_cbranch_execz .LBB7_45
; %bb.57:                               ;   in Loop: Header=BB7_51 Depth=3
	v_add_u32_e32 v18, 3, v19
	v_and_b32_e32 v18, 63, v18
	v_lshl_add_u32 v19, v18, 2, v5
	ds_read_b32 v20, v19
	s_mov_b64 s[58:59], -1
	s_mov_b64 s[56:57], -1
                                        ; implicit-def: $vgpr19
	s_waitcnt lgkmcnt(0)
	v_cmp_ne_u32_e32 vcc, -1, v20
	s_and_saveexec_b64 s[54:55], vcc
	s_cbranch_execz .LBB7_44
; %bb.58:                               ;   in Loop: Header=BB7_51 Depth=3
	v_cmp_ne_u32_e32 vcc, v20, v10
	s_mov_b64 s[56:57], 0
                                        ; implicit-def: $vgpr19
	s_and_saveexec_b64 s[60:61], vcc
	s_cbranch_execz .LBB7_43
; %bb.59:                               ;   in Loop: Header=BB7_51 Depth=3
	v_add_u32_e32 v17, -4, v17
	v_cmp_eq_u32_e32 vcc, 0, v17
	s_mov_b64 s[56:57], exec
	v_add_u32_e32 v19, 1, v18
	s_orn2_b64 s[58:59], vcc, exec
	s_branch .LBB7_43
.LBB7_60:                               ;   in Loop: Header=BB7_42 Depth=2
	s_or_b64 exec, exec, s[36:37]
	s_xor_b64 s[34:35], s[34:35], -1
	s_and_saveexec_b64 s[36:37], s[34:35]
	s_xor_b64 s[34:35], exec, s[36:37]
	s_cbranch_execz .LBB7_41
; %bb.61:                               ;   in Loop: Header=BB7_42 Depth=2
	v_lshl_add_u32 v10, v18, 2, v15
	ds_read_b32 v18, v10
	v_lshl_add_u64 v[20:21], v[8:9], 2, s[8:9]
	s_waitcnt lgkmcnt(0)
	v_ashrrev_i32_e32 v19, 31, v18
	v_lshl_add_u64 v[18:19], v[18:19], 2, s[8:9]
	global_load_dword v9, v[20:21], off
	global_load_dword v10, v[18:19], off
	s_waitcnt vmcnt(0)
	v_fma_f32 v9, -v11, v9, v10
	global_store_dword v[18:19], v9, off
	s_branch .LBB7_41
.LBB7_62:
	s_or_b64 exec, exec, s[2:3]
	v_cmp_lt_i32_e32 vcc, -1, v4
	s_and_saveexec_b64 s[6:7], vcc
	s_cbranch_execz .LBB7_78
; %bb.63:
	v_mov_b32_e32 v5, 0
	v_lshl_add_u64 v[6:7], v[4:5], 2, s[8:9]
	global_load_dword v8, v[6:7], off
	v_cmp_eq_u32_e64 s[2:3], 0, v12
	s_andn2_b64 vcc, exec, s[30:31]
	s_waitcnt vmcnt(0)
	v_cmp_gt_f32_e64 s[4:5], 0, v8
	s_nop 1
	v_cndmask_b32_e64 v4, v8, -v8, s[4:5]
	v_cvt_f64_f32_e32 v[4:5], v4
	s_mov_b64 s[4:5], -1
	s_cbranch_vccnz .LBB7_67
; %bb.64:
	s_cmp_eq_u64 s[20:21], 8
	v_cvt_f64_f32_e32 v[10:11], v13
	s_cselect_b64 vcc, -1, 0
	v_cndmask_b32_e32 v3, v11, v3, vcc
	v_cndmask_b32_e32 v2, v10, v2, vcc
	v_cmp_ge_f64_e32 vcc, v[2:3], v[4:5]
	s_and_b64 s[8:9], s[2:3], vcc
	s_and_saveexec_b64 s[4:5], s[8:9]
	s_cbranch_execz .LBB7_66
; %bb.65:
	global_store_dword v[6:7], v14, off
	buffer_wbl2 sc1
	s_waitcnt vmcnt(0)
	buffer_inv sc1
.LBB7_66:
	s_or_b64 exec, exec, s[4:5]
	s_mov_b64 s[4:5], 0
.LBB7_67:
	s_andn2_b64 vcc, exec, s[4:5]
	s_cbranch_vccnz .LBB7_78
; %bb.68:
	s_load_dwordx2 s[0:1], s[0:1], 0x48
	v_add_u32_e32 v2, s28, v0
	s_waitcnt lgkmcnt(0)
	v_cmp_ge_f64_e32 vcc, s[0:1], v[4:5]
	s_and_b64 s[4:5], s[2:3], vcc
	s_and_saveexec_b64 s[0:1], s[4:5]
	s_cbranch_execz .LBB7_73
; %bb.69:
	s_mov_b64 s[4:5], exec
	s_brev_b32 s8, -2
.LBB7_70:                               ; =>This Inner Loop Header: Depth=1
	s_ff1_i32_b64 s9, s[4:5]
	v_readlane_b32 s14, v2, s9
	s_lshl_b64 s[10:11], 1, s9
	s_min_i32 s8, s8, s14
	s_andn2_b64 s[4:5], s[4:5], s[10:11]
	s_cmp_lg_u64 s[4:5], 0
	s_cbranch_scc1 .LBB7_70
; %bb.71:
	v_mbcnt_lo_u32_b32 v3, exec_lo, 0
	v_mbcnt_hi_u32_b32 v3, exec_hi, v3
	v_cmp_eq_u32_e32 vcc, 0, v3
	s_and_saveexec_b64 s[4:5], vcc
	s_xor_b64 s[4:5], exec, s[4:5]
	s_cbranch_execz .LBB7_73
; %bb.72:
	v_mov_b32_e32 v3, 0
	v_mov_b32_e32 v4, s8
	global_atomic_smin v3, v4, s[18:19]
.LBB7_73:
	s_or_b64 exec, exec, s[0:1]
	v_cmp_eq_f32_e32 vcc, 0, v8
	s_and_b64 s[0:1], s[2:3], vcc
	s_and_b64 exec, exec, s[0:1]
	s_cbranch_execz .LBB7_78
; %bb.74:
	s_mov_b64 s[0:1], exec
	s_brev_b32 s2, -2
.LBB7_75:                               ; =>This Inner Loop Header: Depth=1
	s_ff1_i32_b64 s3, s[0:1]
	v_readlane_b32 s8, v2, s3
	s_lshl_b64 s[4:5], 1, s3
	s_min_i32 s2, s2, s8
	s_andn2_b64 s[0:1], s[0:1], s[4:5]
	s_cmp_lg_u64 s[0:1], 0
	s_cbranch_scc1 .LBB7_75
; %bb.76:
	v_mbcnt_lo_u32_b32 v2, exec_lo, 0
	v_mbcnt_hi_u32_b32 v2, exec_hi, v2
	v_cmp_eq_u32_e32 vcc, 0, v2
	s_and_saveexec_b64 s[0:1], vcc
	s_xor_b64 s[0:1], exec, s[0:1]
	s_cbranch_execz .LBB7_78
; %bb.77:
	v_mov_b32_e32 v2, 0
	v_mov_b32_e32 v3, s2
	global_atomic_smin v2, v3, s[16:17]
.LBB7_78:
	s_or_b64 exec, exec, s[6:7]
	v_cmp_eq_u32_e32 vcc, 0, v12
	buffer_wbl2 sc1
	s_waitcnt vmcnt(0)
	buffer_inv sc1
	s_and_b64 exec, exec, vcc
	s_cbranch_execz .LBB7_80
; %bb.79:
	v_lshl_add_u64 v[0:1], v[0:1], 2, s[12:13]
	v_mov_b32_e32 v2, 1
	buffer_wbl2 sc1
	global_store_dword v[0:1], v2, off sc1
.LBB7_80:
	s_endpgm
	.section	.rodata,"a",@progbits
	.p2align	6, 0x0
	.amdhsa_kernel _ZN9rocsparseL12csrilu0_hashILj256ELj64ELj1EfEEviPKiS2_PT2_S2_PiS2_S5_S5_d21rocsparse_index_base_imNS_24const_host_device_scalarIfEENS7_IdEENS7_IS3_EEb
		.amdhsa_group_segment_fixed_size 2048
		.amdhsa_private_segment_fixed_size 0
		.amdhsa_kernarg_size 124
		.amdhsa_user_sgpr_count 2
		.amdhsa_user_sgpr_dispatch_ptr 0
		.amdhsa_user_sgpr_queue_ptr 0
		.amdhsa_user_sgpr_kernarg_segment_ptr 1
		.amdhsa_user_sgpr_dispatch_id 0
		.amdhsa_user_sgpr_kernarg_preload_length 0
		.amdhsa_user_sgpr_kernarg_preload_offset 0
		.amdhsa_user_sgpr_private_segment_size 0
		.amdhsa_uses_dynamic_stack 0
		.amdhsa_enable_private_segment 0
		.amdhsa_system_sgpr_workgroup_id_x 1
		.amdhsa_system_sgpr_workgroup_id_y 0
		.amdhsa_system_sgpr_workgroup_id_z 0
		.amdhsa_system_sgpr_workgroup_info 0
		.amdhsa_system_vgpr_workitem_id 0
		.amdhsa_next_free_vgpr 24
		.amdhsa_next_free_sgpr 62
		.amdhsa_accum_offset 24
		.amdhsa_reserve_vcc 1
		.amdhsa_float_round_mode_32 0
		.amdhsa_float_round_mode_16_64 0
		.amdhsa_float_denorm_mode_32 3
		.amdhsa_float_denorm_mode_16_64 3
		.amdhsa_dx10_clamp 1
		.amdhsa_ieee_mode 1
		.amdhsa_fp16_overflow 0
		.amdhsa_tg_split 0
		.amdhsa_exception_fp_ieee_invalid_op 0
		.amdhsa_exception_fp_denorm_src 0
		.amdhsa_exception_fp_ieee_div_zero 0
		.amdhsa_exception_fp_ieee_overflow 0
		.amdhsa_exception_fp_ieee_underflow 0
		.amdhsa_exception_fp_ieee_inexact 0
		.amdhsa_exception_int_div_zero 0
	.end_amdhsa_kernel
	.section	.text._ZN9rocsparseL12csrilu0_hashILj256ELj64ELj1EfEEviPKiS2_PT2_S2_PiS2_S5_S5_d21rocsparse_index_base_imNS_24const_host_device_scalarIfEENS7_IdEENS7_IS3_EEb,"axG",@progbits,_ZN9rocsparseL12csrilu0_hashILj256ELj64ELj1EfEEviPKiS2_PT2_S2_PiS2_S5_S5_d21rocsparse_index_base_imNS_24const_host_device_scalarIfEENS7_IdEENS7_IS3_EEb,comdat
.Lfunc_end7:
	.size	_ZN9rocsparseL12csrilu0_hashILj256ELj64ELj1EfEEviPKiS2_PT2_S2_PiS2_S5_S5_d21rocsparse_index_base_imNS_24const_host_device_scalarIfEENS7_IdEENS7_IS3_EEb, .Lfunc_end7-_ZN9rocsparseL12csrilu0_hashILj256ELj64ELj1EfEEviPKiS2_PT2_S2_PiS2_S5_S5_d21rocsparse_index_base_imNS_24const_host_device_scalarIfEENS7_IdEENS7_IS3_EEb
                                        ; -- End function
	.set _ZN9rocsparseL12csrilu0_hashILj256ELj64ELj1EfEEviPKiS2_PT2_S2_PiS2_S5_S5_d21rocsparse_index_base_imNS_24const_host_device_scalarIfEENS7_IdEENS7_IS3_EEb.num_vgpr, 24
	.set _ZN9rocsparseL12csrilu0_hashILj256ELj64ELj1EfEEviPKiS2_PT2_S2_PiS2_S5_S5_d21rocsparse_index_base_imNS_24const_host_device_scalarIfEENS7_IdEENS7_IS3_EEb.num_agpr, 0
	.set _ZN9rocsparseL12csrilu0_hashILj256ELj64ELj1EfEEviPKiS2_PT2_S2_PiS2_S5_S5_d21rocsparse_index_base_imNS_24const_host_device_scalarIfEENS7_IdEENS7_IS3_EEb.numbered_sgpr, 62
	.set _ZN9rocsparseL12csrilu0_hashILj256ELj64ELj1EfEEviPKiS2_PT2_S2_PiS2_S5_S5_d21rocsparse_index_base_imNS_24const_host_device_scalarIfEENS7_IdEENS7_IS3_EEb.num_named_barrier, 0
	.set _ZN9rocsparseL12csrilu0_hashILj256ELj64ELj1EfEEviPKiS2_PT2_S2_PiS2_S5_S5_d21rocsparse_index_base_imNS_24const_host_device_scalarIfEENS7_IdEENS7_IS3_EEb.private_seg_size, 0
	.set _ZN9rocsparseL12csrilu0_hashILj256ELj64ELj1EfEEviPKiS2_PT2_S2_PiS2_S5_S5_d21rocsparse_index_base_imNS_24const_host_device_scalarIfEENS7_IdEENS7_IS3_EEb.uses_vcc, 1
	.set _ZN9rocsparseL12csrilu0_hashILj256ELj64ELj1EfEEviPKiS2_PT2_S2_PiS2_S5_S5_d21rocsparse_index_base_imNS_24const_host_device_scalarIfEENS7_IdEENS7_IS3_EEb.uses_flat_scratch, 0
	.set _ZN9rocsparseL12csrilu0_hashILj256ELj64ELj1EfEEviPKiS2_PT2_S2_PiS2_S5_S5_d21rocsparse_index_base_imNS_24const_host_device_scalarIfEENS7_IdEENS7_IS3_EEb.has_dyn_sized_stack, 0
	.set _ZN9rocsparseL12csrilu0_hashILj256ELj64ELj1EfEEviPKiS2_PT2_S2_PiS2_S5_S5_d21rocsparse_index_base_imNS_24const_host_device_scalarIfEENS7_IdEENS7_IS3_EEb.has_recursion, 0
	.set _ZN9rocsparseL12csrilu0_hashILj256ELj64ELj1EfEEviPKiS2_PT2_S2_PiS2_S5_S5_d21rocsparse_index_base_imNS_24const_host_device_scalarIfEENS7_IdEENS7_IS3_EEb.has_indirect_call, 0
	.section	.AMDGPU.csdata,"",@progbits
; Kernel info:
; codeLenInByte = 2404
; TotalNumSgprs: 68
; NumVgprs: 24
; NumAgprs: 0
; TotalNumVgprs: 24
; ScratchSize: 0
; MemoryBound: 0
; FloatMode: 240
; IeeeMode: 1
; LDSByteSize: 2048 bytes/workgroup (compile time only)
; SGPRBlocks: 8
; VGPRBlocks: 2
; NumSGPRsForWavesPerEU: 68
; NumVGPRsForWavesPerEU: 24
; AccumOffset: 24
; Occupancy: 8
; WaveLimiterHint : 1
; COMPUTE_PGM_RSRC2:SCRATCH_EN: 0
; COMPUTE_PGM_RSRC2:USER_SGPR: 2
; COMPUTE_PGM_RSRC2:TRAP_HANDLER: 0
; COMPUTE_PGM_RSRC2:TGID_X_EN: 1
; COMPUTE_PGM_RSRC2:TGID_Y_EN: 0
; COMPUTE_PGM_RSRC2:TGID_Z_EN: 0
; COMPUTE_PGM_RSRC2:TIDIG_COMP_CNT: 0
; COMPUTE_PGM_RSRC3_GFX90A:ACCUM_OFFSET: 5
; COMPUTE_PGM_RSRC3_GFX90A:TG_SPLIT: 0
	.section	.text._ZN9rocsparseL12csrilu0_hashILj256ELj64ELj2EfEEviPKiS2_PT2_S2_PiS2_S5_S5_d21rocsparse_index_base_imNS_24const_host_device_scalarIfEENS7_IdEENS7_IS3_EEb,"axG",@progbits,_ZN9rocsparseL12csrilu0_hashILj256ELj64ELj2EfEEviPKiS2_PT2_S2_PiS2_S5_S5_d21rocsparse_index_base_imNS_24const_host_device_scalarIfEENS7_IdEENS7_IS3_EEb,comdat
	.globl	_ZN9rocsparseL12csrilu0_hashILj256ELj64ELj2EfEEviPKiS2_PT2_S2_PiS2_S5_S5_d21rocsparse_index_base_imNS_24const_host_device_scalarIfEENS7_IdEENS7_IS3_EEb ; -- Begin function _ZN9rocsparseL12csrilu0_hashILj256ELj64ELj2EfEEviPKiS2_PT2_S2_PiS2_S5_S5_d21rocsparse_index_base_imNS_24const_host_device_scalarIfEENS7_IdEENS7_IS3_EEb
	.p2align	8
	.type	_ZN9rocsparseL12csrilu0_hashILj256ELj64ELj2EfEEviPKiS2_PT2_S2_PiS2_S5_S5_d21rocsparse_index_base_imNS_24const_host_device_scalarIfEENS7_IdEENS7_IS3_EEb,@function
_ZN9rocsparseL12csrilu0_hashILj256ELj64ELj2EfEEviPKiS2_PT2_S2_PiS2_S5_S5_d21rocsparse_index_base_imNS_24const_host_device_scalarIfEENS7_IdEENS7_IS3_EEb: ; @_ZN9rocsparseL12csrilu0_hashILj256ELj64ELj2EfEEviPKiS2_PT2_S2_PiS2_S5_S5_d21rocsparse_index_base_imNS_24const_host_device_scalarIfEENS7_IdEENS7_IS3_EEb
; %bb.0:
	s_load_dword s3, s[0:1], 0x78
	s_load_dwordx2 s[28:29], s[0:1], 0x50
	s_load_dwordx8 s[20:27], s[0:1], 0x58
	s_waitcnt lgkmcnt(0)
	s_bitcmp1_b32 s3, 0
	s_cselect_b64 s[4:5], -1, 0
	s_cmp_eq_u32 s29, 0
	s_cselect_b64 s[6:7], -1, 0
	s_cmp_lg_u32 s29, 0
	s_cselect_b64 s[30:31], -1, 0
	s_or_b64 s[4:5], s[6:7], s[4:5]
	s_xor_b64 s[8:9], s[4:5], -1
	s_and_b64 s[10:11], s[6:7], exec
	s_cselect_b32 s11, 0, s25
	s_cselect_b32 s10, 0, s24
	s_and_b64 vcc, exec, s[4:5]
	s_cbranch_vccnz .LBB8_2
; %bb.1:
	s_load_dword s3, s[22:23], 0x0
	s_mov_b64 s[10:11], s[24:25]
	s_waitcnt lgkmcnt(0)
	v_mov_b32_e32 v13, s3
	s_branch .LBB8_3
.LBB8_2:
	v_mov_b32_e32 v1, s22
	v_cndmask_b32_e64 v13, v1, 0, s[6:7]
.LBB8_3:
	v_cndmask_b32_e64 v1, 0, 1, s[8:9]
	v_cmp_ne_u32_e64 s[4:5], 1, v1
	s_andn2_b64 vcc, exec, s[8:9]
	v_mov_b64_e32 v[2:3], s[10:11]
	s_cbranch_vccnz .LBB8_5
; %bb.4:
	v_mov_b64_e32 v[2:3], s[24:25]
	flat_load_dwordx2 v[2:3], v[2:3]
.LBB8_5:
	s_and_b64 vcc, exec, s[4:5]
	s_cbranch_vccnz .LBB8_7
; %bb.6:
	s_load_dword s3, s[26:27], 0x0
	s_waitcnt lgkmcnt(0)
	v_mov_b32_e32 v14, s3
	s_branch .LBB8_8
.LBB8_7:
	v_mov_b32_e32 v1, s26
	v_cndmask_b32_e64 v14, v1, 0, s[6:7]
.LBB8_8:
	s_load_dword s3, s[0:1], 0x0
	v_lshlrev_b32_e32 v1, 1, v0
	s_lshl_b32 s2, s2, 2
	v_and_b32_e32 v12, 63, v0
	v_and_b32_e32 v6, 0x180, v1
	v_mov_b32_e32 v1, 0x800
	v_lshrrev_b32_e32 v0, 6, v0
	s_and_b32 s2, s2, 0x3fffffc
	v_lshl_or_b32 v5, v6, 2, v1
	v_or_b32_e32 v0, s2, v0
	v_lshl_or_b32 v1, v12, 2, v5
	v_mov_b32_e32 v4, -1
	s_waitcnt lgkmcnt(0)
	v_cmp_gt_i32_e32 vcc, s3, v0
	ds_write2st64_b32 v1, v4, v4 offset1:1
	s_waitcnt lgkmcnt(0)
	s_and_saveexec_b64 s[2:3], vcc
	s_cbranch_execz .LBB8_80
; %bb.9:
	s_load_dwordx16 s[4:19], s[0:1], 0x8
	v_lshlrev_b32_e32 v0, 2, v0
	v_lshlrev_b32_e32 v15, 2, v6
	s_waitcnt lgkmcnt(0)
	global_load_dword v0, v0, s[14:15]
	s_waitcnt vmcnt(0)
	v_ashrrev_i32_e32 v1, 31, v0
	v_lshlrev_b64 v[8:9], 2, v[0:1]
	v_lshl_add_u64 v[10:11], s[4:5], 0, v[8:9]
	global_load_dwordx2 v[10:11], v[10:11], off
	v_lshl_add_u64 v[8:9], s[10:11], 0, v[8:9]
	global_load_dword v4, v[8:9], off
	s_waitcnt vmcnt(1)
	v_subrev_u32_e32 v6, s28, v10
	v_subrev_u32_e32 v7, s28, v11
	v_add_u32_e32 v8, v6, v12
	v_cmp_lt_i32_e32 vcc, v8, v7
	s_and_saveexec_b64 s[2:3], vcc
	s_cbranch_execz .LBB8_32
; %bb.10:
	s_mov_b64 s[14:15], 0
	s_movk_i32 s29, 0x67
	v_mov_b32_e32 v10, -1
	s_branch .LBB8_12
.LBB8_11:                               ;   in Loop: Header=BB8_12 Depth=1
	s_or_b64 exec, exec, s[22:23]
	v_add_u32_e32 v8, 64, v8
	v_cmp_ge_i32_e32 vcc, v8, v7
	s_or_b64 s[14:15], vcc, s[14:15]
	s_andn2_b64 exec, exec, s[14:15]
	s_cbranch_execz .LBB8_32
.LBB8_12:                               ; =>This Loop Header: Depth=1
                                        ;     Child Loop BB8_21 Depth 2
	v_ashrrev_i32_e32 v9, 31, v8
	v_lshl_add_u64 v[16:17], v[8:9], 2, s[6:7]
	global_load_dword v9, v[16:17], off
	v_mov_b32_e32 v11, 0x80
	s_mov_b64 s[24:25], 0
                                        ; implicit-def: $sgpr22_sgpr23
                                        ; implicit-def: $sgpr26_sgpr27
                                        ; implicit-def: $sgpr34_sgpr35
	s_waitcnt vmcnt(0)
	v_mul_lo_u32 v17, v9, s29
	s_branch .LBB8_21
.LBB8_13:                               ;   in Loop: Header=BB8_21 Depth=2
	s_or_b64 exec, exec, s[54:55]
	s_orn2_b64 s[50:51], s[50:51], exec
	s_orn2_b64 s[52:53], s[52:53], exec
.LBB8_14:                               ;   in Loop: Header=BB8_21 Depth=2
	s_or_b64 exec, exec, s[48:49]
	s_and_b64 s[50:51], s[50:51], exec
	s_orn2_b64 s[48:49], s[52:53], exec
.LBB8_15:                               ;   in Loop: Header=BB8_21 Depth=2
	s_or_b64 exec, exec, s[46:47]
	s_orn2_b64 s[50:51], s[50:51], exec
	s_orn2_b64 s[46:47], s[48:49], exec
.LBB8_16:                               ;   in Loop: Header=BB8_21 Depth=2
	s_or_b64 exec, exec, s[44:45]
	s_and_b64 s[48:49], s[50:51], exec
	s_orn2_b64 s[44:45], s[46:47], exec
.LBB8_17:                               ;   in Loop: Header=BB8_21 Depth=2
	s_or_b64 exec, exec, s[42:43]
	s_orn2_b64 s[42:43], s[48:49], exec
	s_orn2_b64 s[44:45], s[44:45], exec
.LBB8_18:                               ;   in Loop: Header=BB8_21 Depth=2
	s_or_b64 exec, exec, s[40:41]
	s_and_b64 s[42:43], s[42:43], exec
	s_orn2_b64 s[40:41], s[44:45], exec
.LBB8_19:                               ;   in Loop: Header=BB8_21 Depth=2
	s_or_b64 exec, exec, s[38:39]
	s_andn2_b64 s[34:35], s[34:35], exec
	s_and_b64 s[38:39], s[42:43], exec
	s_or_b64 s[34:35], s[34:35], s[38:39]
	s_andn2_b64 s[26:27], s[26:27], exec
	s_and_b64 s[38:39], s[40:41], exec
	s_or_b64 s[26:27], s[26:27], s[38:39]
.LBB8_20:                               ;   in Loop: Header=BB8_21 Depth=2
	s_or_b64 exec, exec, s[36:37]
	s_and_b64 s[36:37], exec, s[26:27]
	s_or_b64 s[24:25], s[36:37], s[24:25]
	s_andn2_b64 s[22:23], s[22:23], exec
	s_and_b64 s[36:37], s[34:35], exec
	s_or_b64 s[22:23], s[22:23], s[36:37]
	s_andn2_b64 exec, exec, s[24:25]
	s_cbranch_execz .LBB8_30
.LBB8_21:                               ;   Parent Loop BB8_12 Depth=1
                                        ; =>  This Inner Loop Header: Depth=2
	v_and_b32_e32 v16, 0x7f, v17
	v_lshl_add_u32 v18, v16, 2, v5
	ds_read_b32 v19, v18
	s_or_b64 s[34:35], s[34:35], exec
	s_or_b64 s[26:27], s[26:27], exec
	s_waitcnt lgkmcnt(0)
	v_cmp_ne_u32_e32 vcc, v19, v9
	s_and_saveexec_b64 s[36:37], vcc
	s_cbranch_execz .LBB8_20
; %bb.22:                               ;   in Loop: Header=BB8_21 Depth=2
	ds_cmpst_rtn_b32 v18, v18, v10, v9
	s_mov_b64 s[40:41], -1
	s_mov_b64 s[42:43], 0
	s_waitcnt lgkmcnt(0)
	v_cmp_ne_u32_e32 vcc, -1, v18
	s_and_saveexec_b64 s[38:39], vcc
	s_cbranch_execz .LBB8_19
; %bb.23:                               ;   in Loop: Header=BB8_21 Depth=2
	v_add_u32_e32 v16, 1, v17
	v_and_b32_e32 v16, 0x7f, v16
	v_lshl_add_u32 v18, v16, 2, v5
	ds_read_b32 v19, v18
	s_mov_b64 s[44:45], -1
	s_mov_b64 s[42:43], -1
	s_waitcnt lgkmcnt(0)
	v_cmp_ne_u32_e32 vcc, v19, v9
	s_and_saveexec_b64 s[40:41], vcc
	s_cbranch_execz .LBB8_18
; %bb.24:                               ;   in Loop: Header=BB8_21 Depth=2
	ds_cmpst_rtn_b32 v18, v18, v10, v9
	s_mov_b64 s[48:49], 0
	s_waitcnt lgkmcnt(0)
	v_cmp_ne_u32_e32 vcc, -1, v18
	s_and_saveexec_b64 s[42:43], vcc
	s_cbranch_execz .LBB8_17
; %bb.25:                               ;   in Loop: Header=BB8_21 Depth=2
	v_add_u32_e32 v16, 2, v17
	v_and_b32_e32 v16, 0x7f, v16
	v_lshl_add_u32 v18, v16, 2, v5
	ds_read_b32 v19, v18
	s_mov_b64 s[46:47], -1
	s_mov_b64 s[50:51], -1
	s_waitcnt lgkmcnt(0)
	v_cmp_ne_u32_e32 vcc, v19, v9
	s_and_saveexec_b64 s[44:45], vcc
	s_cbranch_execz .LBB8_16
; %bb.26:                               ;   in Loop: Header=BB8_21 Depth=2
	ds_cmpst_rtn_b32 v18, v18, v10, v9
	s_mov_b64 s[48:49], -1
	s_mov_b64 s[50:51], 0
	s_waitcnt lgkmcnt(0)
	v_cmp_ne_u32_e32 vcc, -1, v18
	s_and_saveexec_b64 s[46:47], vcc
	s_cbranch_execz .LBB8_15
; %bb.27:                               ;   in Loop: Header=BB8_21 Depth=2
	v_add_u32_e32 v16, 3, v17
	v_and_b32_e32 v16, 0x7f, v16
	v_lshl_add_u32 v18, v16, 2, v5
	ds_read_b32 v17, v18
	s_mov_b64 s[52:53], -1
	s_mov_b64 s[50:51], -1
	s_waitcnt lgkmcnt(0)
	v_cmp_ne_u32_e32 vcc, v17, v9
                                        ; implicit-def: $vgpr17
	s_and_saveexec_b64 s[48:49], vcc
	s_cbranch_execz .LBB8_14
; %bb.28:                               ;   in Loop: Header=BB8_21 Depth=2
	ds_cmpst_rtn_b32 v17, v18, v10, v9
	s_mov_b64 s[50:51], 0
	s_waitcnt lgkmcnt(0)
	v_cmp_ne_u32_e32 vcc, -1, v17
                                        ; implicit-def: $vgpr17
	s_and_saveexec_b64 s[54:55], vcc
	s_cbranch_execz .LBB8_13
; %bb.29:                               ;   in Loop: Header=BB8_21 Depth=2
	v_add_u32_e32 v11, -4, v11
	v_cmp_eq_u32_e32 vcc, 0, v11
	s_mov_b64 s[50:51], exec
	v_add_u32_e32 v17, 1, v16
	s_orn2_b64 s[52:53], vcc, exec
	s_branch .LBB8_13
.LBB8_30:                               ;   in Loop: Header=BB8_12 Depth=1
	s_or_b64 exec, exec, s[24:25]
	s_xor_b64 s[22:23], s[22:23], -1
	s_and_saveexec_b64 s[24:25], s[22:23]
	s_xor_b64 s[22:23], exec, s[24:25]
	s_cbranch_execz .LBB8_11
; %bb.31:                               ;   in Loop: Header=BB8_12 Depth=1
	v_lshl_add_u32 v9, v16, 2, v15
	ds_write_b32 v9, v8
	s_branch .LBB8_11
.LBB8_32:
	s_or_b64 exec, exec, s[2:3]
	s_waitcnt vmcnt(0)
	v_cmp_lt_i32_e32 vcc, v6, v4
	s_waitcnt lgkmcnt(0)
	s_and_saveexec_b64 s[2:3], vcc
	s_cbranch_execz .LBB8_62
; %bb.33:
	v_add_u32_e32 v16, 1, v12
	s_mov_b64 s[14:15], 0
	s_movk_i32 s29, 0x67
	s_branch .LBB8_36
.LBB8_34:                               ;   in Loop: Header=BB8_36 Depth=1
	s_or_b64 exec, exec, s[24:25]
	v_add_u32_e32 v6, 1, v6
	v_cmp_ge_i32_e32 vcc, v6, v4
	s_orn2_b64 s[24:25], vcc, exec
.LBB8_35:                               ;   in Loop: Header=BB8_36 Depth=1
	s_or_b64 exec, exec, s[22:23]
	s_and_b64 s[22:23], exec, s[24:25]
	s_or_b64 s[14:15], s[22:23], s[14:15]
	s_andn2_b64 exec, exec, s[14:15]
	s_cbranch_execz .LBB8_62
.LBB8_36:                               ; =>This Loop Header: Depth=1
                                        ;     Child Loop BB8_37 Depth 2
                                        ;     Child Loop BB8_42 Depth 2
                                        ;       Child Loop BB8_51 Depth 3
	v_ashrrev_i32_e32 v7, 31, v6
	v_lshlrev_b64 v[8:9], 2, v[6:7]
	v_lshl_add_u64 v[10:11], s[6:7], 0, v[8:9]
	global_load_dword v7, v[10:11], off
	v_lshl_add_u64 v[8:9], s[8:9], 0, v[8:9]
	global_load_dword v17, v[8:9], off
	s_mov_b64 s[22:23], 0
	s_waitcnt vmcnt(1)
	v_subrev_u32_e32 v10, s28, v7
	v_ashrrev_i32_e32 v11, 31, v10
	v_lshlrev_b64 v[10:11], 2, v[10:11]
	v_lshl_add_u64 v[20:21], s[4:5], 0, v[10:11]
	v_lshl_add_u64 v[22:23], s[10:11], 0, v[10:11]
	global_load_dword v7, v[20:21], off offset:4
	global_load_dword v18, v[22:23], off
	v_lshl_add_u64 v[10:11], s[12:13], 0, v[10:11]
.LBB8_37:                               ;   Parent Loop BB8_36 Depth=1
                                        ; =>  This Inner Loop Header: Depth=2
	global_load_dword v19, v[10:11], off sc1
	s_waitcnt vmcnt(0)
	v_cmp_ne_u32_e32 vcc, 0, v19
	s_or_b64 s[22:23], vcc, s[22:23]
	s_andn2_b64 exec, exec, s[22:23]
	s_cbranch_execnz .LBB8_37
; %bb.38:                               ;   in Loop: Header=BB8_36 Depth=1
	s_or_b64 exec, exec, s[22:23]
	v_subrev_u32_e32 v7, s28, v7
	v_add_u32_e32 v10, -1, v7
	v_cmp_eq_u32_e32 vcc, -1, v18
	buffer_inv sc1
	s_mov_b64 s[24:25], -1
	v_cndmask_b32_e32 v10, v18, v10, vcc
	v_ashrrev_i32_e32 v11, 31, v10
	v_lshl_add_u64 v[18:19], v[10:11], 2, s[8:9]
	global_load_dword v11, v[18:19], off
	s_waitcnt vmcnt(0)
	v_cmp_neq_f32_e32 vcc, 0, v11
	s_and_saveexec_b64 s[22:23], vcc
	s_cbranch_execz .LBB8_35
; %bb.39:                               ;   in Loop: Header=BB8_36 Depth=1
	v_div_scale_f32 v18, s[24:25], v11, v11, v17
	v_rcp_f32_e32 v19, v18
	v_div_scale_f32 v20, vcc, v17, v11, v17
	v_fma_f32 v21, -v18, v19, 1.0
	v_fmac_f32_e32 v19, v21, v19
	v_mul_f32_e32 v21, v20, v19
	v_fma_f32 v22, -v18, v21, v20
	v_fmac_f32_e32 v21, v22, v19
	v_fma_f32 v18, -v18, v21, v20
	v_div_fmas_f32 v18, v18, v19, v21
	v_div_fixup_f32 v11, v18, v11, v17
	global_store_dword v[8:9], v11, off
	v_add_u32_e32 v8, v16, v10
	v_cmp_lt_i32_e32 vcc, v8, v7
	s_and_saveexec_b64 s[24:25], vcc
	s_cbranch_execz .LBB8_34
; %bb.40:                               ;   in Loop: Header=BB8_36 Depth=1
	s_mov_b64 s[26:27], 0
	s_branch .LBB8_42
.LBB8_41:                               ;   in Loop: Header=BB8_42 Depth=2
	s_or_b64 exec, exec, s[34:35]
	v_add_u32_e32 v8, 64, v8
	v_cmp_ge_i32_e32 vcc, v8, v7
	s_or_b64 s[26:27], vcc, s[26:27]
	s_andn2_b64 exec, exec, s[26:27]
	s_cbranch_execz .LBB8_34
.LBB8_42:                               ;   Parent Loop BB8_36 Depth=1
                                        ; =>  This Loop Header: Depth=2
                                        ;       Child Loop BB8_51 Depth 3
	v_ashrrev_i32_e32 v9, 31, v8
	v_lshl_add_u64 v[18:19], v[8:9], 2, s[6:7]
	global_load_dword v10, v[18:19], off
	v_mov_b32_e32 v17, 0x80
	s_mov_b64 s[36:37], 0
                                        ; implicit-def: $sgpr34_sgpr35
                                        ; implicit-def: $sgpr38_sgpr39
                                        ; implicit-def: $sgpr40_sgpr41
	s_waitcnt vmcnt(0)
	v_mul_lo_u32 v19, v10, s29
	s_branch .LBB8_51
.LBB8_43:                               ;   in Loop: Header=BB8_51 Depth=3
	s_or_b64 exec, exec, s[60:61]
	s_orn2_b64 s[56:57], s[56:57], exec
	s_orn2_b64 s[58:59], s[58:59], exec
.LBB8_44:                               ;   in Loop: Header=BB8_51 Depth=3
	s_or_b64 exec, exec, s[54:55]
	s_and_b64 s[56:57], s[56:57], exec
	s_orn2_b64 s[54:55], s[58:59], exec
.LBB8_45:                               ;   in Loop: Header=BB8_51 Depth=3
	s_or_b64 exec, exec, s[52:53]
	s_orn2_b64 s[56:57], s[56:57], exec
	s_orn2_b64 s[52:53], s[54:55], exec
.LBB8_46:                               ;   in Loop: Header=BB8_51 Depth=3
	s_or_b64 exec, exec, s[50:51]
	s_and_b64 s[54:55], s[56:57], exec
	s_orn2_b64 s[50:51], s[52:53], exec
.LBB8_47:                               ;   in Loop: Header=BB8_51 Depth=3
	s_or_b64 exec, exec, s[48:49]
	s_orn2_b64 s[48:49], s[54:55], exec
	s_orn2_b64 s[50:51], s[50:51], exec
.LBB8_48:                               ;   in Loop: Header=BB8_51 Depth=3
	s_or_b64 exec, exec, s[46:47]
	s_and_b64 s[48:49], s[48:49], exec
	s_orn2_b64 s[46:47], s[50:51], exec
.LBB8_49:                               ;   in Loop: Header=BB8_51 Depth=3
	s_or_b64 exec, exec, s[44:45]
	s_andn2_b64 s[40:41], s[40:41], exec
	s_and_b64 s[44:45], s[48:49], exec
	s_or_b64 s[40:41], s[40:41], s[44:45]
	s_andn2_b64 s[38:39], s[38:39], exec
	s_and_b64 s[44:45], s[46:47], exec
	s_or_b64 s[38:39], s[38:39], s[44:45]
.LBB8_50:                               ;   in Loop: Header=BB8_51 Depth=3
	s_or_b64 exec, exec, s[42:43]
	s_and_b64 s[42:43], exec, s[38:39]
	s_or_b64 s[36:37], s[42:43], s[36:37]
	s_andn2_b64 s[34:35], s[34:35], exec
	s_and_b64 s[42:43], s[40:41], exec
	s_or_b64 s[34:35], s[34:35], s[42:43]
	s_andn2_b64 exec, exec, s[36:37]
	s_cbranch_execz .LBB8_60
.LBB8_51:                               ;   Parent Loop BB8_36 Depth=1
                                        ;     Parent Loop BB8_42 Depth=2
                                        ; =>    This Inner Loop Header: Depth=3
	v_and_b32_e32 v18, 0x7f, v19
	v_lshl_add_u32 v20, v18, 2, v5
	ds_read_b32 v20, v20
	s_or_b64 s[40:41], s[40:41], exec
	s_or_b64 s[38:39], s[38:39], exec
	s_waitcnt lgkmcnt(0)
	v_cmp_ne_u32_e32 vcc, -1, v20
	s_and_saveexec_b64 s[42:43], vcc
	s_cbranch_execz .LBB8_50
; %bb.52:                               ;   in Loop: Header=BB8_51 Depth=3
	v_cmp_ne_u32_e32 vcc, v20, v10
	s_mov_b64 s[46:47], -1
	s_mov_b64 s[48:49], 0
	s_and_saveexec_b64 s[44:45], vcc
	s_cbranch_execz .LBB8_49
; %bb.53:                               ;   in Loop: Header=BB8_51 Depth=3
	v_add_u32_e32 v18, 1, v19
	v_and_b32_e32 v18, 0x7f, v18
	v_lshl_add_u32 v20, v18, 2, v5
	ds_read_b32 v20, v20
	s_mov_b64 s[50:51], -1
	s_mov_b64 s[48:49], -1
	s_waitcnt lgkmcnt(0)
	v_cmp_ne_u32_e32 vcc, -1, v20
	s_and_saveexec_b64 s[46:47], vcc
	s_cbranch_execz .LBB8_48
; %bb.54:                               ;   in Loop: Header=BB8_51 Depth=3
	v_cmp_ne_u32_e32 vcc, v20, v10
	s_mov_b64 s[54:55], 0
	s_and_saveexec_b64 s[48:49], vcc
	s_cbranch_execz .LBB8_47
; %bb.55:                               ;   in Loop: Header=BB8_51 Depth=3
	v_add_u32_e32 v18, 2, v19
	v_and_b32_e32 v18, 0x7f, v18
	v_lshl_add_u32 v20, v18, 2, v5
	ds_read_b32 v20, v20
	s_mov_b64 s[52:53], -1
	s_mov_b64 s[56:57], -1
	s_waitcnt lgkmcnt(0)
	v_cmp_ne_u32_e32 vcc, -1, v20
	s_and_saveexec_b64 s[50:51], vcc
	s_cbranch_execz .LBB8_46
; %bb.56:                               ;   in Loop: Header=BB8_51 Depth=3
	v_cmp_ne_u32_e32 vcc, v20, v10
	s_mov_b64 s[54:55], -1
	s_mov_b64 s[56:57], 0
	s_and_saveexec_b64 s[52:53], vcc
	s_cbranch_execz .LBB8_45
; %bb.57:                               ;   in Loop: Header=BB8_51 Depth=3
	v_add_u32_e32 v18, 3, v19
	v_and_b32_e32 v18, 0x7f, v18
	v_lshl_add_u32 v19, v18, 2, v5
	ds_read_b32 v20, v19
	s_mov_b64 s[58:59], -1
	s_mov_b64 s[56:57], -1
                                        ; implicit-def: $vgpr19
	s_waitcnt lgkmcnt(0)
	v_cmp_ne_u32_e32 vcc, -1, v20
	s_and_saveexec_b64 s[54:55], vcc
	s_cbranch_execz .LBB8_44
; %bb.58:                               ;   in Loop: Header=BB8_51 Depth=3
	v_cmp_ne_u32_e32 vcc, v20, v10
	s_mov_b64 s[56:57], 0
                                        ; implicit-def: $vgpr19
	s_and_saveexec_b64 s[60:61], vcc
	s_cbranch_execz .LBB8_43
; %bb.59:                               ;   in Loop: Header=BB8_51 Depth=3
	v_add_u32_e32 v17, -4, v17
	v_cmp_eq_u32_e32 vcc, 0, v17
	s_mov_b64 s[56:57], exec
	v_add_u32_e32 v19, 1, v18
	s_orn2_b64 s[58:59], vcc, exec
	s_branch .LBB8_43
.LBB8_60:                               ;   in Loop: Header=BB8_42 Depth=2
	s_or_b64 exec, exec, s[36:37]
	s_xor_b64 s[34:35], s[34:35], -1
	s_and_saveexec_b64 s[36:37], s[34:35]
	s_xor_b64 s[34:35], exec, s[36:37]
	s_cbranch_execz .LBB8_41
; %bb.61:                               ;   in Loop: Header=BB8_42 Depth=2
	v_lshl_add_u32 v10, v18, 2, v15
	ds_read_b32 v18, v10
	v_lshl_add_u64 v[20:21], v[8:9], 2, s[8:9]
	s_waitcnt lgkmcnt(0)
	v_ashrrev_i32_e32 v19, 31, v18
	v_lshl_add_u64 v[18:19], v[18:19], 2, s[8:9]
	global_load_dword v9, v[20:21], off
	global_load_dword v10, v[18:19], off
	s_waitcnt vmcnt(0)
	v_fma_f32 v9, -v11, v9, v10
	global_store_dword v[18:19], v9, off
	s_branch .LBB8_41
.LBB8_62:
	s_or_b64 exec, exec, s[2:3]
	v_cmp_lt_i32_e32 vcc, -1, v4
	s_and_saveexec_b64 s[6:7], vcc
	s_cbranch_execz .LBB8_78
; %bb.63:
	v_mov_b32_e32 v5, 0
	v_lshl_add_u64 v[6:7], v[4:5], 2, s[8:9]
	global_load_dword v8, v[6:7], off
	v_cmp_eq_u32_e64 s[2:3], 0, v12
	s_andn2_b64 vcc, exec, s[30:31]
	s_waitcnt vmcnt(0)
	v_cmp_gt_f32_e64 s[4:5], 0, v8
	s_nop 1
	v_cndmask_b32_e64 v4, v8, -v8, s[4:5]
	v_cvt_f64_f32_e32 v[4:5], v4
	s_mov_b64 s[4:5], -1
	s_cbranch_vccnz .LBB8_67
; %bb.64:
	s_cmp_eq_u64 s[20:21], 8
	v_cvt_f64_f32_e32 v[10:11], v13
	s_cselect_b64 vcc, -1, 0
	v_cndmask_b32_e32 v3, v11, v3, vcc
	v_cndmask_b32_e32 v2, v10, v2, vcc
	v_cmp_ge_f64_e32 vcc, v[2:3], v[4:5]
	s_and_b64 s[8:9], s[2:3], vcc
	s_and_saveexec_b64 s[4:5], s[8:9]
	s_cbranch_execz .LBB8_66
; %bb.65:
	global_store_dword v[6:7], v14, off
	buffer_wbl2 sc1
	s_waitcnt vmcnt(0)
	buffer_inv sc1
.LBB8_66:
	s_or_b64 exec, exec, s[4:5]
	s_mov_b64 s[4:5], 0
.LBB8_67:
	s_andn2_b64 vcc, exec, s[4:5]
	s_cbranch_vccnz .LBB8_78
; %bb.68:
	s_load_dwordx2 s[0:1], s[0:1], 0x48
	v_add_u32_e32 v2, s28, v0
	s_waitcnt lgkmcnt(0)
	v_cmp_ge_f64_e32 vcc, s[0:1], v[4:5]
	s_and_b64 s[4:5], s[2:3], vcc
	s_and_saveexec_b64 s[0:1], s[4:5]
	s_cbranch_execz .LBB8_73
; %bb.69:
	s_mov_b64 s[4:5], exec
	s_brev_b32 s8, -2
.LBB8_70:                               ; =>This Inner Loop Header: Depth=1
	s_ff1_i32_b64 s9, s[4:5]
	v_readlane_b32 s14, v2, s9
	s_lshl_b64 s[10:11], 1, s9
	s_min_i32 s8, s8, s14
	s_andn2_b64 s[4:5], s[4:5], s[10:11]
	s_cmp_lg_u64 s[4:5], 0
	s_cbranch_scc1 .LBB8_70
; %bb.71:
	v_mbcnt_lo_u32_b32 v3, exec_lo, 0
	v_mbcnt_hi_u32_b32 v3, exec_hi, v3
	v_cmp_eq_u32_e32 vcc, 0, v3
	s_and_saveexec_b64 s[4:5], vcc
	s_xor_b64 s[4:5], exec, s[4:5]
	s_cbranch_execz .LBB8_73
; %bb.72:
	v_mov_b32_e32 v3, 0
	v_mov_b32_e32 v4, s8
	global_atomic_smin v3, v4, s[18:19]
.LBB8_73:
	s_or_b64 exec, exec, s[0:1]
	v_cmp_eq_f32_e32 vcc, 0, v8
	s_and_b64 s[0:1], s[2:3], vcc
	s_and_b64 exec, exec, s[0:1]
	s_cbranch_execz .LBB8_78
; %bb.74:
	s_mov_b64 s[0:1], exec
	s_brev_b32 s2, -2
.LBB8_75:                               ; =>This Inner Loop Header: Depth=1
	s_ff1_i32_b64 s3, s[0:1]
	v_readlane_b32 s8, v2, s3
	s_lshl_b64 s[4:5], 1, s3
	s_min_i32 s2, s2, s8
	s_andn2_b64 s[0:1], s[0:1], s[4:5]
	s_cmp_lg_u64 s[0:1], 0
	s_cbranch_scc1 .LBB8_75
; %bb.76:
	v_mbcnt_lo_u32_b32 v2, exec_lo, 0
	v_mbcnt_hi_u32_b32 v2, exec_hi, v2
	v_cmp_eq_u32_e32 vcc, 0, v2
	s_and_saveexec_b64 s[0:1], vcc
	s_xor_b64 s[0:1], exec, s[0:1]
	s_cbranch_execz .LBB8_78
; %bb.77:
	v_mov_b32_e32 v2, 0
	v_mov_b32_e32 v3, s2
	global_atomic_smin v2, v3, s[16:17]
.LBB8_78:
	s_or_b64 exec, exec, s[6:7]
	v_cmp_eq_u32_e32 vcc, 0, v12
	buffer_wbl2 sc1
	s_waitcnt vmcnt(0)
	buffer_inv sc1
	s_and_b64 exec, exec, vcc
	s_cbranch_execz .LBB8_80
; %bb.79:
	v_lshl_add_u64 v[0:1], v[0:1], 2, s[12:13]
	v_mov_b32_e32 v2, 1
	buffer_wbl2 sc1
	global_store_dword v[0:1], v2, off sc1
.LBB8_80:
	s_endpgm
	.section	.rodata,"a",@progbits
	.p2align	6, 0x0
	.amdhsa_kernel _ZN9rocsparseL12csrilu0_hashILj256ELj64ELj2EfEEviPKiS2_PT2_S2_PiS2_S5_S5_d21rocsparse_index_base_imNS_24const_host_device_scalarIfEENS7_IdEENS7_IS3_EEb
		.amdhsa_group_segment_fixed_size 4096
		.amdhsa_private_segment_fixed_size 0
		.amdhsa_kernarg_size 124
		.amdhsa_user_sgpr_count 2
		.amdhsa_user_sgpr_dispatch_ptr 0
		.amdhsa_user_sgpr_queue_ptr 0
		.amdhsa_user_sgpr_kernarg_segment_ptr 1
		.amdhsa_user_sgpr_dispatch_id 0
		.amdhsa_user_sgpr_kernarg_preload_length 0
		.amdhsa_user_sgpr_kernarg_preload_offset 0
		.amdhsa_user_sgpr_private_segment_size 0
		.amdhsa_uses_dynamic_stack 0
		.amdhsa_enable_private_segment 0
		.amdhsa_system_sgpr_workgroup_id_x 1
		.amdhsa_system_sgpr_workgroup_id_y 0
		.amdhsa_system_sgpr_workgroup_id_z 0
		.amdhsa_system_sgpr_workgroup_info 0
		.amdhsa_system_vgpr_workitem_id 0
		.amdhsa_next_free_vgpr 24
		.amdhsa_next_free_sgpr 62
		.amdhsa_accum_offset 24
		.amdhsa_reserve_vcc 1
		.amdhsa_float_round_mode_32 0
		.amdhsa_float_round_mode_16_64 0
		.amdhsa_float_denorm_mode_32 3
		.amdhsa_float_denorm_mode_16_64 3
		.amdhsa_dx10_clamp 1
		.amdhsa_ieee_mode 1
		.amdhsa_fp16_overflow 0
		.amdhsa_tg_split 0
		.amdhsa_exception_fp_ieee_invalid_op 0
		.amdhsa_exception_fp_denorm_src 0
		.amdhsa_exception_fp_ieee_div_zero 0
		.amdhsa_exception_fp_ieee_overflow 0
		.amdhsa_exception_fp_ieee_underflow 0
		.amdhsa_exception_fp_ieee_inexact 0
		.amdhsa_exception_int_div_zero 0
	.end_amdhsa_kernel
	.section	.text._ZN9rocsparseL12csrilu0_hashILj256ELj64ELj2EfEEviPKiS2_PT2_S2_PiS2_S5_S5_d21rocsparse_index_base_imNS_24const_host_device_scalarIfEENS7_IdEENS7_IS3_EEb,"axG",@progbits,_ZN9rocsparseL12csrilu0_hashILj256ELj64ELj2EfEEviPKiS2_PT2_S2_PiS2_S5_S5_d21rocsparse_index_base_imNS_24const_host_device_scalarIfEENS7_IdEENS7_IS3_EEb,comdat
.Lfunc_end8:
	.size	_ZN9rocsparseL12csrilu0_hashILj256ELj64ELj2EfEEviPKiS2_PT2_S2_PiS2_S5_S5_d21rocsparse_index_base_imNS_24const_host_device_scalarIfEENS7_IdEENS7_IS3_EEb, .Lfunc_end8-_ZN9rocsparseL12csrilu0_hashILj256ELj64ELj2EfEEviPKiS2_PT2_S2_PiS2_S5_S5_d21rocsparse_index_base_imNS_24const_host_device_scalarIfEENS7_IdEENS7_IS3_EEb
                                        ; -- End function
	.set _ZN9rocsparseL12csrilu0_hashILj256ELj64ELj2EfEEviPKiS2_PT2_S2_PiS2_S5_S5_d21rocsparse_index_base_imNS_24const_host_device_scalarIfEENS7_IdEENS7_IS3_EEb.num_vgpr, 24
	.set _ZN9rocsparseL12csrilu0_hashILj256ELj64ELj2EfEEviPKiS2_PT2_S2_PiS2_S5_S5_d21rocsparse_index_base_imNS_24const_host_device_scalarIfEENS7_IdEENS7_IS3_EEb.num_agpr, 0
	.set _ZN9rocsparseL12csrilu0_hashILj256ELj64ELj2EfEEviPKiS2_PT2_S2_PiS2_S5_S5_d21rocsparse_index_base_imNS_24const_host_device_scalarIfEENS7_IdEENS7_IS3_EEb.numbered_sgpr, 62
	.set _ZN9rocsparseL12csrilu0_hashILj256ELj64ELj2EfEEviPKiS2_PT2_S2_PiS2_S5_S5_d21rocsparse_index_base_imNS_24const_host_device_scalarIfEENS7_IdEENS7_IS3_EEb.num_named_barrier, 0
	.set _ZN9rocsparseL12csrilu0_hashILj256ELj64ELj2EfEEviPKiS2_PT2_S2_PiS2_S5_S5_d21rocsparse_index_base_imNS_24const_host_device_scalarIfEENS7_IdEENS7_IS3_EEb.private_seg_size, 0
	.set _ZN9rocsparseL12csrilu0_hashILj256ELj64ELj2EfEEviPKiS2_PT2_S2_PiS2_S5_S5_d21rocsparse_index_base_imNS_24const_host_device_scalarIfEENS7_IdEENS7_IS3_EEb.uses_vcc, 1
	.set _ZN9rocsparseL12csrilu0_hashILj256ELj64ELj2EfEEviPKiS2_PT2_S2_PiS2_S5_S5_d21rocsparse_index_base_imNS_24const_host_device_scalarIfEENS7_IdEENS7_IS3_EEb.uses_flat_scratch, 0
	.set _ZN9rocsparseL12csrilu0_hashILj256ELj64ELj2EfEEviPKiS2_PT2_S2_PiS2_S5_S5_d21rocsparse_index_base_imNS_24const_host_device_scalarIfEENS7_IdEENS7_IS3_EEb.has_dyn_sized_stack, 0
	.set _ZN9rocsparseL12csrilu0_hashILj256ELj64ELj2EfEEviPKiS2_PT2_S2_PiS2_S5_S5_d21rocsparse_index_base_imNS_24const_host_device_scalarIfEENS7_IdEENS7_IS3_EEb.has_recursion, 0
	.set _ZN9rocsparseL12csrilu0_hashILj256ELj64ELj2EfEEviPKiS2_PT2_S2_PiS2_S5_S5_d21rocsparse_index_base_imNS_24const_host_device_scalarIfEENS7_IdEENS7_IS3_EEb.has_indirect_call, 0
	.section	.AMDGPU.csdata,"",@progbits
; Kernel info:
; codeLenInByte = 2456
; TotalNumSgprs: 68
; NumVgprs: 24
; NumAgprs: 0
; TotalNumVgprs: 24
; ScratchSize: 0
; MemoryBound: 0
; FloatMode: 240
; IeeeMode: 1
; LDSByteSize: 4096 bytes/workgroup (compile time only)
; SGPRBlocks: 8
; VGPRBlocks: 2
; NumSGPRsForWavesPerEU: 68
; NumVGPRsForWavesPerEU: 24
; AccumOffset: 24
; Occupancy: 8
; WaveLimiterHint : 1
; COMPUTE_PGM_RSRC2:SCRATCH_EN: 0
; COMPUTE_PGM_RSRC2:USER_SGPR: 2
; COMPUTE_PGM_RSRC2:TRAP_HANDLER: 0
; COMPUTE_PGM_RSRC2:TGID_X_EN: 1
; COMPUTE_PGM_RSRC2:TGID_Y_EN: 0
; COMPUTE_PGM_RSRC2:TGID_Z_EN: 0
; COMPUTE_PGM_RSRC2:TIDIG_COMP_CNT: 0
; COMPUTE_PGM_RSRC3_GFX90A:ACCUM_OFFSET: 5
; COMPUTE_PGM_RSRC3_GFX90A:TG_SPLIT: 0
	.section	.text._ZN9rocsparseL12csrilu0_hashILj256ELj64ELj4EfEEviPKiS2_PT2_S2_PiS2_S5_S5_d21rocsparse_index_base_imNS_24const_host_device_scalarIfEENS7_IdEENS7_IS3_EEb,"axG",@progbits,_ZN9rocsparseL12csrilu0_hashILj256ELj64ELj4EfEEviPKiS2_PT2_S2_PiS2_S5_S5_d21rocsparse_index_base_imNS_24const_host_device_scalarIfEENS7_IdEENS7_IS3_EEb,comdat
	.globl	_ZN9rocsparseL12csrilu0_hashILj256ELj64ELj4EfEEviPKiS2_PT2_S2_PiS2_S5_S5_d21rocsparse_index_base_imNS_24const_host_device_scalarIfEENS7_IdEENS7_IS3_EEb ; -- Begin function _ZN9rocsparseL12csrilu0_hashILj256ELj64ELj4EfEEviPKiS2_PT2_S2_PiS2_S5_S5_d21rocsparse_index_base_imNS_24const_host_device_scalarIfEENS7_IdEENS7_IS3_EEb
	.p2align	8
	.type	_ZN9rocsparseL12csrilu0_hashILj256ELj64ELj4EfEEviPKiS2_PT2_S2_PiS2_S5_S5_d21rocsparse_index_base_imNS_24const_host_device_scalarIfEENS7_IdEENS7_IS3_EEb,@function
_ZN9rocsparseL12csrilu0_hashILj256ELj64ELj4EfEEviPKiS2_PT2_S2_PiS2_S5_S5_d21rocsparse_index_base_imNS_24const_host_device_scalarIfEENS7_IdEENS7_IS3_EEb: ; @_ZN9rocsparseL12csrilu0_hashILj256ELj64ELj4EfEEviPKiS2_PT2_S2_PiS2_S5_S5_d21rocsparse_index_base_imNS_24const_host_device_scalarIfEENS7_IdEENS7_IS3_EEb
; %bb.0:
	s_load_dword s3, s[0:1], 0x78
	s_load_dwordx2 s[28:29], s[0:1], 0x50
	s_load_dwordx8 s[20:27], s[0:1], 0x58
	s_waitcnt lgkmcnt(0)
	s_bitcmp1_b32 s3, 0
	s_cselect_b64 s[4:5], -1, 0
	s_cmp_eq_u32 s29, 0
	s_cselect_b64 s[6:7], -1, 0
	s_cmp_lg_u32 s29, 0
	s_cselect_b64 s[30:31], -1, 0
	s_or_b64 s[4:5], s[6:7], s[4:5]
	s_xor_b64 s[8:9], s[4:5], -1
	s_and_b64 s[10:11], s[6:7], exec
	s_cselect_b32 s11, 0, s25
	s_cselect_b32 s10, 0, s24
	s_and_b64 vcc, exec, s[4:5]
	s_cbranch_vccnz .LBB9_2
; %bb.1:
	s_load_dword s3, s[22:23], 0x0
	s_mov_b64 s[10:11], s[24:25]
	s_waitcnt lgkmcnt(0)
	v_mov_b32_e32 v13, s3
	s_branch .LBB9_3
.LBB9_2:
	v_mov_b32_e32 v1, s22
	v_cndmask_b32_e64 v13, v1, 0, s[6:7]
.LBB9_3:
	v_cndmask_b32_e64 v1, 0, 1, s[8:9]
	v_cmp_ne_u32_e64 s[4:5], 1, v1
	s_andn2_b64 vcc, exec, s[8:9]
	v_mov_b64_e32 v[2:3], s[10:11]
	s_cbranch_vccnz .LBB9_5
; %bb.4:
	v_mov_b64_e32 v[2:3], s[24:25]
	flat_load_dwordx2 v[2:3], v[2:3]
.LBB9_5:
	s_and_b64 vcc, exec, s[4:5]
	s_cbranch_vccnz .LBB9_7
; %bb.6:
	s_load_dword s3, s[26:27], 0x0
	s_waitcnt lgkmcnt(0)
	v_mov_b32_e32 v14, s3
	s_branch .LBB9_8
.LBB9_7:
	v_mov_b32_e32 v1, s26
	v_cndmask_b32_e64 v14, v1, 0, s[6:7]
.LBB9_8:
	s_load_dword s3, s[0:1], 0x0
	v_lshlrev_b32_e32 v1, 2, v0
	s_lshl_b32 s2, s2, 2
	v_and_b32_e32 v12, 63, v0
	v_and_b32_e32 v6, 0x300, v1
	v_mov_b32_e32 v1, 0x1000
	v_lshrrev_b32_e32 v0, 6, v0
	s_and_b32 s2, s2, 0x3fffffc
	v_lshl_or_b32 v5, v6, 2, v1
	v_or_b32_e32 v0, s2, v0
	v_lshl_or_b32 v1, v12, 2, v5
	v_mov_b32_e32 v4, -1
	s_waitcnt lgkmcnt(0)
	v_cmp_gt_i32_e32 vcc, s3, v0
	ds_write2st64_b32 v1, v4, v4 offset1:1
	ds_write2st64_b32 v1, v4, v4 offset0:2 offset1:3
	s_waitcnt lgkmcnt(0)
	s_and_saveexec_b64 s[2:3], vcc
	s_cbranch_execz .LBB9_80
; %bb.9:
	s_load_dwordx16 s[4:19], s[0:1], 0x8
	v_lshlrev_b32_e32 v0, 2, v0
	v_lshlrev_b32_e32 v15, 2, v6
	s_waitcnt lgkmcnt(0)
	global_load_dword v0, v0, s[14:15]
	s_waitcnt vmcnt(0)
	v_ashrrev_i32_e32 v1, 31, v0
	v_lshlrev_b64 v[8:9], 2, v[0:1]
	v_lshl_add_u64 v[10:11], s[4:5], 0, v[8:9]
	global_load_dwordx2 v[10:11], v[10:11], off
	v_lshl_add_u64 v[8:9], s[10:11], 0, v[8:9]
	global_load_dword v4, v[8:9], off
	s_waitcnt vmcnt(1)
	v_subrev_u32_e32 v6, s28, v10
	v_subrev_u32_e32 v7, s28, v11
	v_add_u32_e32 v8, v6, v12
	v_cmp_lt_i32_e32 vcc, v8, v7
	s_and_saveexec_b64 s[2:3], vcc
	s_cbranch_execz .LBB9_32
; %bb.10:
	s_mov_b64 s[14:15], 0
	s_movk_i32 s29, 0x67
	v_mov_b32_e32 v10, -1
	s_branch .LBB9_12
.LBB9_11:                               ;   in Loop: Header=BB9_12 Depth=1
	s_or_b64 exec, exec, s[22:23]
	v_add_u32_e32 v8, 64, v8
	v_cmp_ge_i32_e32 vcc, v8, v7
	s_or_b64 s[14:15], vcc, s[14:15]
	s_andn2_b64 exec, exec, s[14:15]
	s_cbranch_execz .LBB9_32
.LBB9_12:                               ; =>This Loop Header: Depth=1
                                        ;     Child Loop BB9_21 Depth 2
	v_ashrrev_i32_e32 v9, 31, v8
	v_lshl_add_u64 v[16:17], v[8:9], 2, s[6:7]
	global_load_dword v9, v[16:17], off
	v_mov_b32_e32 v11, 0x100
	s_mov_b64 s[24:25], 0
                                        ; implicit-def: $sgpr22_sgpr23
                                        ; implicit-def: $sgpr26_sgpr27
                                        ; implicit-def: $sgpr34_sgpr35
	s_waitcnt vmcnt(0)
	v_mul_lo_u32 v17, v9, s29
	s_branch .LBB9_21
.LBB9_13:                               ;   in Loop: Header=BB9_21 Depth=2
	s_or_b64 exec, exec, s[54:55]
	s_orn2_b64 s[50:51], s[50:51], exec
	s_orn2_b64 s[52:53], s[52:53], exec
.LBB9_14:                               ;   in Loop: Header=BB9_21 Depth=2
	s_or_b64 exec, exec, s[48:49]
	s_and_b64 s[50:51], s[50:51], exec
	s_orn2_b64 s[48:49], s[52:53], exec
.LBB9_15:                               ;   in Loop: Header=BB9_21 Depth=2
	s_or_b64 exec, exec, s[46:47]
	s_orn2_b64 s[50:51], s[50:51], exec
	s_orn2_b64 s[46:47], s[48:49], exec
.LBB9_16:                               ;   in Loop: Header=BB9_21 Depth=2
	s_or_b64 exec, exec, s[44:45]
	s_and_b64 s[48:49], s[50:51], exec
	s_orn2_b64 s[44:45], s[46:47], exec
.LBB9_17:                               ;   in Loop: Header=BB9_21 Depth=2
	s_or_b64 exec, exec, s[42:43]
	s_orn2_b64 s[42:43], s[48:49], exec
	s_orn2_b64 s[44:45], s[44:45], exec
.LBB9_18:                               ;   in Loop: Header=BB9_21 Depth=2
	s_or_b64 exec, exec, s[40:41]
	s_and_b64 s[42:43], s[42:43], exec
	s_orn2_b64 s[40:41], s[44:45], exec
.LBB9_19:                               ;   in Loop: Header=BB9_21 Depth=2
	s_or_b64 exec, exec, s[38:39]
	s_andn2_b64 s[34:35], s[34:35], exec
	s_and_b64 s[38:39], s[42:43], exec
	s_or_b64 s[34:35], s[34:35], s[38:39]
	s_andn2_b64 s[26:27], s[26:27], exec
	s_and_b64 s[38:39], s[40:41], exec
	s_or_b64 s[26:27], s[26:27], s[38:39]
.LBB9_20:                               ;   in Loop: Header=BB9_21 Depth=2
	s_or_b64 exec, exec, s[36:37]
	s_and_b64 s[36:37], exec, s[26:27]
	s_or_b64 s[24:25], s[36:37], s[24:25]
	s_andn2_b64 s[22:23], s[22:23], exec
	s_and_b64 s[36:37], s[34:35], exec
	s_or_b64 s[22:23], s[22:23], s[36:37]
	s_andn2_b64 exec, exec, s[24:25]
	s_cbranch_execz .LBB9_30
.LBB9_21:                               ;   Parent Loop BB9_12 Depth=1
                                        ; =>  This Inner Loop Header: Depth=2
	v_and_b32_e32 v16, 0xff, v17
	v_lshl_add_u32 v18, v16, 2, v5
	ds_read_b32 v19, v18
	s_or_b64 s[34:35], s[34:35], exec
	s_or_b64 s[26:27], s[26:27], exec
	s_waitcnt lgkmcnt(0)
	v_cmp_ne_u32_e32 vcc, v19, v9
	s_and_saveexec_b64 s[36:37], vcc
	s_cbranch_execz .LBB9_20
; %bb.22:                               ;   in Loop: Header=BB9_21 Depth=2
	ds_cmpst_rtn_b32 v18, v18, v10, v9
	s_mov_b64 s[40:41], -1
	s_mov_b64 s[42:43], 0
	s_waitcnt lgkmcnt(0)
	v_cmp_ne_u32_e32 vcc, -1, v18
	s_and_saveexec_b64 s[38:39], vcc
	s_cbranch_execz .LBB9_19
; %bb.23:                               ;   in Loop: Header=BB9_21 Depth=2
	v_add_u32_e32 v16, 1, v17
	v_and_b32_e32 v16, 0xff, v16
	v_lshl_add_u32 v18, v16, 2, v5
	ds_read_b32 v19, v18
	s_mov_b64 s[44:45], -1
	s_mov_b64 s[42:43], -1
	s_waitcnt lgkmcnt(0)
	v_cmp_ne_u32_e32 vcc, v19, v9
	s_and_saveexec_b64 s[40:41], vcc
	s_cbranch_execz .LBB9_18
; %bb.24:                               ;   in Loop: Header=BB9_21 Depth=2
	ds_cmpst_rtn_b32 v18, v18, v10, v9
	s_mov_b64 s[48:49], 0
	s_waitcnt lgkmcnt(0)
	v_cmp_ne_u32_e32 vcc, -1, v18
	s_and_saveexec_b64 s[42:43], vcc
	s_cbranch_execz .LBB9_17
; %bb.25:                               ;   in Loop: Header=BB9_21 Depth=2
	v_add_u32_e32 v16, 2, v17
	v_and_b32_e32 v16, 0xff, v16
	v_lshl_add_u32 v18, v16, 2, v5
	ds_read_b32 v19, v18
	s_mov_b64 s[46:47], -1
	s_mov_b64 s[50:51], -1
	s_waitcnt lgkmcnt(0)
	v_cmp_ne_u32_e32 vcc, v19, v9
	s_and_saveexec_b64 s[44:45], vcc
	s_cbranch_execz .LBB9_16
; %bb.26:                               ;   in Loop: Header=BB9_21 Depth=2
	ds_cmpst_rtn_b32 v18, v18, v10, v9
	s_mov_b64 s[48:49], -1
	s_mov_b64 s[50:51], 0
	s_waitcnt lgkmcnt(0)
	v_cmp_ne_u32_e32 vcc, -1, v18
	s_and_saveexec_b64 s[46:47], vcc
	s_cbranch_execz .LBB9_15
; %bb.27:                               ;   in Loop: Header=BB9_21 Depth=2
	v_add_u32_e32 v16, 3, v17
	v_and_b32_e32 v16, 0xff, v16
	v_lshl_add_u32 v18, v16, 2, v5
	ds_read_b32 v17, v18
	s_mov_b64 s[52:53], -1
	s_mov_b64 s[50:51], -1
	s_waitcnt lgkmcnt(0)
	v_cmp_ne_u32_e32 vcc, v17, v9
                                        ; implicit-def: $vgpr17
	s_and_saveexec_b64 s[48:49], vcc
	s_cbranch_execz .LBB9_14
; %bb.28:                               ;   in Loop: Header=BB9_21 Depth=2
	ds_cmpst_rtn_b32 v17, v18, v10, v9
	s_mov_b64 s[50:51], 0
	s_waitcnt lgkmcnt(0)
	v_cmp_ne_u32_e32 vcc, -1, v17
                                        ; implicit-def: $vgpr17
	s_and_saveexec_b64 s[54:55], vcc
	s_cbranch_execz .LBB9_13
; %bb.29:                               ;   in Loop: Header=BB9_21 Depth=2
	v_add_u32_e32 v11, -4, v11
	v_cmp_eq_u32_e32 vcc, 0, v11
	s_mov_b64 s[50:51], exec
	v_add_u32_e32 v17, 1, v16
	s_orn2_b64 s[52:53], vcc, exec
	s_branch .LBB9_13
.LBB9_30:                               ;   in Loop: Header=BB9_12 Depth=1
	s_or_b64 exec, exec, s[24:25]
	s_xor_b64 s[22:23], s[22:23], -1
	s_and_saveexec_b64 s[24:25], s[22:23]
	s_xor_b64 s[22:23], exec, s[24:25]
	s_cbranch_execz .LBB9_11
; %bb.31:                               ;   in Loop: Header=BB9_12 Depth=1
	v_lshl_add_u32 v9, v16, 2, v15
	ds_write_b32 v9, v8
	s_branch .LBB9_11
.LBB9_32:
	s_or_b64 exec, exec, s[2:3]
	s_waitcnt vmcnt(0)
	v_cmp_lt_i32_e32 vcc, v6, v4
	s_waitcnt lgkmcnt(0)
	s_and_saveexec_b64 s[2:3], vcc
	s_cbranch_execz .LBB9_62
; %bb.33:
	v_add_u32_e32 v16, 1, v12
	s_mov_b64 s[14:15], 0
	s_movk_i32 s29, 0x67
	s_branch .LBB9_36
.LBB9_34:                               ;   in Loop: Header=BB9_36 Depth=1
	s_or_b64 exec, exec, s[24:25]
	v_add_u32_e32 v6, 1, v6
	v_cmp_ge_i32_e32 vcc, v6, v4
	s_orn2_b64 s[24:25], vcc, exec
.LBB9_35:                               ;   in Loop: Header=BB9_36 Depth=1
	s_or_b64 exec, exec, s[22:23]
	s_and_b64 s[22:23], exec, s[24:25]
	s_or_b64 s[14:15], s[22:23], s[14:15]
	s_andn2_b64 exec, exec, s[14:15]
	s_cbranch_execz .LBB9_62
.LBB9_36:                               ; =>This Loop Header: Depth=1
                                        ;     Child Loop BB9_37 Depth 2
                                        ;     Child Loop BB9_42 Depth 2
                                        ;       Child Loop BB9_51 Depth 3
	v_ashrrev_i32_e32 v7, 31, v6
	v_lshlrev_b64 v[8:9], 2, v[6:7]
	v_lshl_add_u64 v[10:11], s[6:7], 0, v[8:9]
	global_load_dword v7, v[10:11], off
	v_lshl_add_u64 v[8:9], s[8:9], 0, v[8:9]
	global_load_dword v17, v[8:9], off
	s_mov_b64 s[22:23], 0
	s_waitcnt vmcnt(1)
	v_subrev_u32_e32 v10, s28, v7
	v_ashrrev_i32_e32 v11, 31, v10
	v_lshlrev_b64 v[10:11], 2, v[10:11]
	v_lshl_add_u64 v[20:21], s[4:5], 0, v[10:11]
	v_lshl_add_u64 v[22:23], s[10:11], 0, v[10:11]
	global_load_dword v7, v[20:21], off offset:4
	global_load_dword v18, v[22:23], off
	v_lshl_add_u64 v[10:11], s[12:13], 0, v[10:11]
.LBB9_37:                               ;   Parent Loop BB9_36 Depth=1
                                        ; =>  This Inner Loop Header: Depth=2
	global_load_dword v19, v[10:11], off sc1
	s_waitcnt vmcnt(0)
	v_cmp_ne_u32_e32 vcc, 0, v19
	s_or_b64 s[22:23], vcc, s[22:23]
	s_andn2_b64 exec, exec, s[22:23]
	s_cbranch_execnz .LBB9_37
; %bb.38:                               ;   in Loop: Header=BB9_36 Depth=1
	s_or_b64 exec, exec, s[22:23]
	v_subrev_u32_e32 v7, s28, v7
	v_add_u32_e32 v10, -1, v7
	v_cmp_eq_u32_e32 vcc, -1, v18
	buffer_inv sc1
	s_mov_b64 s[24:25], -1
	v_cndmask_b32_e32 v10, v18, v10, vcc
	v_ashrrev_i32_e32 v11, 31, v10
	v_lshl_add_u64 v[18:19], v[10:11], 2, s[8:9]
	global_load_dword v11, v[18:19], off
	s_waitcnt vmcnt(0)
	v_cmp_neq_f32_e32 vcc, 0, v11
	s_and_saveexec_b64 s[22:23], vcc
	s_cbranch_execz .LBB9_35
; %bb.39:                               ;   in Loop: Header=BB9_36 Depth=1
	v_div_scale_f32 v18, s[24:25], v11, v11, v17
	v_rcp_f32_e32 v19, v18
	v_div_scale_f32 v20, vcc, v17, v11, v17
	v_fma_f32 v21, -v18, v19, 1.0
	v_fmac_f32_e32 v19, v21, v19
	v_mul_f32_e32 v21, v20, v19
	v_fma_f32 v22, -v18, v21, v20
	v_fmac_f32_e32 v21, v22, v19
	v_fma_f32 v18, -v18, v21, v20
	v_div_fmas_f32 v18, v18, v19, v21
	v_div_fixup_f32 v11, v18, v11, v17
	global_store_dword v[8:9], v11, off
	v_add_u32_e32 v8, v16, v10
	v_cmp_lt_i32_e32 vcc, v8, v7
	s_and_saveexec_b64 s[24:25], vcc
	s_cbranch_execz .LBB9_34
; %bb.40:                               ;   in Loop: Header=BB9_36 Depth=1
	s_mov_b64 s[26:27], 0
	s_branch .LBB9_42
.LBB9_41:                               ;   in Loop: Header=BB9_42 Depth=2
	s_or_b64 exec, exec, s[34:35]
	v_add_u32_e32 v8, 64, v8
	v_cmp_ge_i32_e32 vcc, v8, v7
	s_or_b64 s[26:27], vcc, s[26:27]
	s_andn2_b64 exec, exec, s[26:27]
	s_cbranch_execz .LBB9_34
.LBB9_42:                               ;   Parent Loop BB9_36 Depth=1
                                        ; =>  This Loop Header: Depth=2
                                        ;       Child Loop BB9_51 Depth 3
	v_ashrrev_i32_e32 v9, 31, v8
	v_lshl_add_u64 v[18:19], v[8:9], 2, s[6:7]
	global_load_dword v10, v[18:19], off
	v_mov_b32_e32 v17, 0x100
	s_mov_b64 s[36:37], 0
                                        ; implicit-def: $sgpr34_sgpr35
                                        ; implicit-def: $sgpr38_sgpr39
                                        ; implicit-def: $sgpr40_sgpr41
	s_waitcnt vmcnt(0)
	v_mul_lo_u32 v19, v10, s29
	s_branch .LBB9_51
.LBB9_43:                               ;   in Loop: Header=BB9_51 Depth=3
	s_or_b64 exec, exec, s[60:61]
	s_orn2_b64 s[56:57], s[56:57], exec
	s_orn2_b64 s[58:59], s[58:59], exec
.LBB9_44:                               ;   in Loop: Header=BB9_51 Depth=3
	s_or_b64 exec, exec, s[54:55]
	s_and_b64 s[56:57], s[56:57], exec
	s_orn2_b64 s[54:55], s[58:59], exec
.LBB9_45:                               ;   in Loop: Header=BB9_51 Depth=3
	s_or_b64 exec, exec, s[52:53]
	s_orn2_b64 s[56:57], s[56:57], exec
	s_orn2_b64 s[52:53], s[54:55], exec
.LBB9_46:                               ;   in Loop: Header=BB9_51 Depth=3
	s_or_b64 exec, exec, s[50:51]
	s_and_b64 s[54:55], s[56:57], exec
	s_orn2_b64 s[50:51], s[52:53], exec
.LBB9_47:                               ;   in Loop: Header=BB9_51 Depth=3
	s_or_b64 exec, exec, s[48:49]
	s_orn2_b64 s[48:49], s[54:55], exec
	s_orn2_b64 s[50:51], s[50:51], exec
.LBB9_48:                               ;   in Loop: Header=BB9_51 Depth=3
	s_or_b64 exec, exec, s[46:47]
	s_and_b64 s[48:49], s[48:49], exec
	s_orn2_b64 s[46:47], s[50:51], exec
.LBB9_49:                               ;   in Loop: Header=BB9_51 Depth=3
	s_or_b64 exec, exec, s[44:45]
	s_andn2_b64 s[40:41], s[40:41], exec
	s_and_b64 s[44:45], s[48:49], exec
	s_or_b64 s[40:41], s[40:41], s[44:45]
	s_andn2_b64 s[38:39], s[38:39], exec
	s_and_b64 s[44:45], s[46:47], exec
	s_or_b64 s[38:39], s[38:39], s[44:45]
.LBB9_50:                               ;   in Loop: Header=BB9_51 Depth=3
	s_or_b64 exec, exec, s[42:43]
	s_and_b64 s[42:43], exec, s[38:39]
	s_or_b64 s[36:37], s[42:43], s[36:37]
	s_andn2_b64 s[34:35], s[34:35], exec
	s_and_b64 s[42:43], s[40:41], exec
	s_or_b64 s[34:35], s[34:35], s[42:43]
	s_andn2_b64 exec, exec, s[36:37]
	s_cbranch_execz .LBB9_60
.LBB9_51:                               ;   Parent Loop BB9_36 Depth=1
                                        ;     Parent Loop BB9_42 Depth=2
                                        ; =>    This Inner Loop Header: Depth=3
	v_and_b32_e32 v18, 0xff, v19
	v_lshl_add_u32 v20, v18, 2, v5
	ds_read_b32 v20, v20
	s_or_b64 s[40:41], s[40:41], exec
	s_or_b64 s[38:39], s[38:39], exec
	s_waitcnt lgkmcnt(0)
	v_cmp_ne_u32_e32 vcc, -1, v20
	s_and_saveexec_b64 s[42:43], vcc
	s_cbranch_execz .LBB9_50
; %bb.52:                               ;   in Loop: Header=BB9_51 Depth=3
	v_cmp_ne_u32_e32 vcc, v20, v10
	s_mov_b64 s[46:47], -1
	s_mov_b64 s[48:49], 0
	s_and_saveexec_b64 s[44:45], vcc
	s_cbranch_execz .LBB9_49
; %bb.53:                               ;   in Loop: Header=BB9_51 Depth=3
	v_add_u32_e32 v18, 1, v19
	v_and_b32_e32 v18, 0xff, v18
	v_lshl_add_u32 v20, v18, 2, v5
	ds_read_b32 v20, v20
	s_mov_b64 s[50:51], -1
	s_mov_b64 s[48:49], -1
	s_waitcnt lgkmcnt(0)
	v_cmp_ne_u32_e32 vcc, -1, v20
	s_and_saveexec_b64 s[46:47], vcc
	s_cbranch_execz .LBB9_48
; %bb.54:                               ;   in Loop: Header=BB9_51 Depth=3
	v_cmp_ne_u32_e32 vcc, v20, v10
	s_mov_b64 s[54:55], 0
	s_and_saveexec_b64 s[48:49], vcc
	s_cbranch_execz .LBB9_47
; %bb.55:                               ;   in Loop: Header=BB9_51 Depth=3
	v_add_u32_e32 v18, 2, v19
	v_and_b32_e32 v18, 0xff, v18
	v_lshl_add_u32 v20, v18, 2, v5
	ds_read_b32 v20, v20
	s_mov_b64 s[52:53], -1
	s_mov_b64 s[56:57], -1
	s_waitcnt lgkmcnt(0)
	v_cmp_ne_u32_e32 vcc, -1, v20
	s_and_saveexec_b64 s[50:51], vcc
	s_cbranch_execz .LBB9_46
; %bb.56:                               ;   in Loop: Header=BB9_51 Depth=3
	v_cmp_ne_u32_e32 vcc, v20, v10
	s_mov_b64 s[54:55], -1
	s_mov_b64 s[56:57], 0
	s_and_saveexec_b64 s[52:53], vcc
	s_cbranch_execz .LBB9_45
; %bb.57:                               ;   in Loop: Header=BB9_51 Depth=3
	v_add_u32_e32 v18, 3, v19
	v_and_b32_e32 v18, 0xff, v18
	v_lshl_add_u32 v19, v18, 2, v5
	ds_read_b32 v20, v19
	s_mov_b64 s[58:59], -1
	s_mov_b64 s[56:57], -1
                                        ; implicit-def: $vgpr19
	s_waitcnt lgkmcnt(0)
	v_cmp_ne_u32_e32 vcc, -1, v20
	s_and_saveexec_b64 s[54:55], vcc
	s_cbranch_execz .LBB9_44
; %bb.58:                               ;   in Loop: Header=BB9_51 Depth=3
	v_cmp_ne_u32_e32 vcc, v20, v10
	s_mov_b64 s[56:57], 0
                                        ; implicit-def: $vgpr19
	s_and_saveexec_b64 s[60:61], vcc
	s_cbranch_execz .LBB9_43
; %bb.59:                               ;   in Loop: Header=BB9_51 Depth=3
	v_add_u32_e32 v17, -4, v17
	v_cmp_eq_u32_e32 vcc, 0, v17
	s_mov_b64 s[56:57], exec
	v_add_u32_e32 v19, 1, v18
	s_orn2_b64 s[58:59], vcc, exec
	s_branch .LBB9_43
.LBB9_60:                               ;   in Loop: Header=BB9_42 Depth=2
	s_or_b64 exec, exec, s[36:37]
	s_xor_b64 s[34:35], s[34:35], -1
	s_and_saveexec_b64 s[36:37], s[34:35]
	s_xor_b64 s[34:35], exec, s[36:37]
	s_cbranch_execz .LBB9_41
; %bb.61:                               ;   in Loop: Header=BB9_42 Depth=2
	v_lshl_add_u32 v10, v18, 2, v15
	ds_read_b32 v18, v10
	v_lshl_add_u64 v[20:21], v[8:9], 2, s[8:9]
	s_waitcnt lgkmcnt(0)
	v_ashrrev_i32_e32 v19, 31, v18
	v_lshl_add_u64 v[18:19], v[18:19], 2, s[8:9]
	global_load_dword v9, v[20:21], off
	global_load_dword v10, v[18:19], off
	s_waitcnt vmcnt(0)
	v_fma_f32 v9, -v11, v9, v10
	global_store_dword v[18:19], v9, off
	s_branch .LBB9_41
.LBB9_62:
	s_or_b64 exec, exec, s[2:3]
	v_cmp_lt_i32_e32 vcc, -1, v4
	s_and_saveexec_b64 s[6:7], vcc
	s_cbranch_execz .LBB9_78
; %bb.63:
	v_mov_b32_e32 v5, 0
	v_lshl_add_u64 v[6:7], v[4:5], 2, s[8:9]
	global_load_dword v8, v[6:7], off
	v_cmp_eq_u32_e64 s[2:3], 0, v12
	s_andn2_b64 vcc, exec, s[30:31]
	s_waitcnt vmcnt(0)
	v_cmp_gt_f32_e64 s[4:5], 0, v8
	s_nop 1
	v_cndmask_b32_e64 v4, v8, -v8, s[4:5]
	v_cvt_f64_f32_e32 v[4:5], v4
	s_mov_b64 s[4:5], -1
	s_cbranch_vccnz .LBB9_67
; %bb.64:
	s_cmp_eq_u64 s[20:21], 8
	v_cvt_f64_f32_e32 v[10:11], v13
	s_cselect_b64 vcc, -1, 0
	v_cndmask_b32_e32 v3, v11, v3, vcc
	v_cndmask_b32_e32 v2, v10, v2, vcc
	v_cmp_ge_f64_e32 vcc, v[2:3], v[4:5]
	s_and_b64 s[8:9], s[2:3], vcc
	s_and_saveexec_b64 s[4:5], s[8:9]
	s_cbranch_execz .LBB9_66
; %bb.65:
	global_store_dword v[6:7], v14, off
	buffer_wbl2 sc1
	s_waitcnt vmcnt(0)
	buffer_inv sc1
.LBB9_66:
	s_or_b64 exec, exec, s[4:5]
	s_mov_b64 s[4:5], 0
.LBB9_67:
	s_andn2_b64 vcc, exec, s[4:5]
	s_cbranch_vccnz .LBB9_78
; %bb.68:
	s_load_dwordx2 s[0:1], s[0:1], 0x48
	v_add_u32_e32 v2, s28, v0
	s_waitcnt lgkmcnt(0)
	v_cmp_ge_f64_e32 vcc, s[0:1], v[4:5]
	s_and_b64 s[4:5], s[2:3], vcc
	s_and_saveexec_b64 s[0:1], s[4:5]
	s_cbranch_execz .LBB9_73
; %bb.69:
	s_mov_b64 s[4:5], exec
	s_brev_b32 s8, -2
.LBB9_70:                               ; =>This Inner Loop Header: Depth=1
	s_ff1_i32_b64 s9, s[4:5]
	v_readlane_b32 s14, v2, s9
	s_lshl_b64 s[10:11], 1, s9
	s_min_i32 s8, s8, s14
	s_andn2_b64 s[4:5], s[4:5], s[10:11]
	s_cmp_lg_u64 s[4:5], 0
	s_cbranch_scc1 .LBB9_70
; %bb.71:
	v_mbcnt_lo_u32_b32 v3, exec_lo, 0
	v_mbcnt_hi_u32_b32 v3, exec_hi, v3
	v_cmp_eq_u32_e32 vcc, 0, v3
	s_and_saveexec_b64 s[4:5], vcc
	s_xor_b64 s[4:5], exec, s[4:5]
	s_cbranch_execz .LBB9_73
; %bb.72:
	v_mov_b32_e32 v3, 0
	v_mov_b32_e32 v4, s8
	global_atomic_smin v3, v4, s[18:19]
.LBB9_73:
	s_or_b64 exec, exec, s[0:1]
	v_cmp_eq_f32_e32 vcc, 0, v8
	s_and_b64 s[0:1], s[2:3], vcc
	s_and_b64 exec, exec, s[0:1]
	s_cbranch_execz .LBB9_78
; %bb.74:
	s_mov_b64 s[0:1], exec
	s_brev_b32 s2, -2
.LBB9_75:                               ; =>This Inner Loop Header: Depth=1
	s_ff1_i32_b64 s3, s[0:1]
	v_readlane_b32 s8, v2, s3
	s_lshl_b64 s[4:5], 1, s3
	s_min_i32 s2, s2, s8
	s_andn2_b64 s[0:1], s[0:1], s[4:5]
	s_cmp_lg_u64 s[0:1], 0
	s_cbranch_scc1 .LBB9_75
; %bb.76:
	v_mbcnt_lo_u32_b32 v2, exec_lo, 0
	v_mbcnt_hi_u32_b32 v2, exec_hi, v2
	v_cmp_eq_u32_e32 vcc, 0, v2
	s_and_saveexec_b64 s[0:1], vcc
	s_xor_b64 s[0:1], exec, s[0:1]
	s_cbranch_execz .LBB9_78
; %bb.77:
	v_mov_b32_e32 v2, 0
	v_mov_b32_e32 v3, s2
	global_atomic_smin v2, v3, s[16:17]
.LBB9_78:
	s_or_b64 exec, exec, s[6:7]
	v_cmp_eq_u32_e32 vcc, 0, v12
	buffer_wbl2 sc1
	s_waitcnt vmcnt(0)
	buffer_inv sc1
	s_and_b64 exec, exec, vcc
	s_cbranch_execz .LBB9_80
; %bb.79:
	v_lshl_add_u64 v[0:1], v[0:1], 2, s[12:13]
	v_mov_b32_e32 v2, 1
	buffer_wbl2 sc1
	global_store_dword v[0:1], v2, off sc1
.LBB9_80:
	s_endpgm
	.section	.rodata,"a",@progbits
	.p2align	6, 0x0
	.amdhsa_kernel _ZN9rocsparseL12csrilu0_hashILj256ELj64ELj4EfEEviPKiS2_PT2_S2_PiS2_S5_S5_d21rocsparse_index_base_imNS_24const_host_device_scalarIfEENS7_IdEENS7_IS3_EEb
		.amdhsa_group_segment_fixed_size 8192
		.amdhsa_private_segment_fixed_size 0
		.amdhsa_kernarg_size 124
		.amdhsa_user_sgpr_count 2
		.amdhsa_user_sgpr_dispatch_ptr 0
		.amdhsa_user_sgpr_queue_ptr 0
		.amdhsa_user_sgpr_kernarg_segment_ptr 1
		.amdhsa_user_sgpr_dispatch_id 0
		.amdhsa_user_sgpr_kernarg_preload_length 0
		.amdhsa_user_sgpr_kernarg_preload_offset 0
		.amdhsa_user_sgpr_private_segment_size 0
		.amdhsa_uses_dynamic_stack 0
		.amdhsa_enable_private_segment 0
		.amdhsa_system_sgpr_workgroup_id_x 1
		.amdhsa_system_sgpr_workgroup_id_y 0
		.amdhsa_system_sgpr_workgroup_id_z 0
		.amdhsa_system_sgpr_workgroup_info 0
		.amdhsa_system_vgpr_workitem_id 0
		.amdhsa_next_free_vgpr 24
		.amdhsa_next_free_sgpr 62
		.amdhsa_accum_offset 24
		.amdhsa_reserve_vcc 1
		.amdhsa_float_round_mode_32 0
		.amdhsa_float_round_mode_16_64 0
		.amdhsa_float_denorm_mode_32 3
		.amdhsa_float_denorm_mode_16_64 3
		.amdhsa_dx10_clamp 1
		.amdhsa_ieee_mode 1
		.amdhsa_fp16_overflow 0
		.amdhsa_tg_split 0
		.amdhsa_exception_fp_ieee_invalid_op 0
		.amdhsa_exception_fp_denorm_src 0
		.amdhsa_exception_fp_ieee_div_zero 0
		.amdhsa_exception_fp_ieee_overflow 0
		.amdhsa_exception_fp_ieee_underflow 0
		.amdhsa_exception_fp_ieee_inexact 0
		.amdhsa_exception_int_div_zero 0
	.end_amdhsa_kernel
	.section	.text._ZN9rocsparseL12csrilu0_hashILj256ELj64ELj4EfEEviPKiS2_PT2_S2_PiS2_S5_S5_d21rocsparse_index_base_imNS_24const_host_device_scalarIfEENS7_IdEENS7_IS3_EEb,"axG",@progbits,_ZN9rocsparseL12csrilu0_hashILj256ELj64ELj4EfEEviPKiS2_PT2_S2_PiS2_S5_S5_d21rocsparse_index_base_imNS_24const_host_device_scalarIfEENS7_IdEENS7_IS3_EEb,comdat
.Lfunc_end9:
	.size	_ZN9rocsparseL12csrilu0_hashILj256ELj64ELj4EfEEviPKiS2_PT2_S2_PiS2_S5_S5_d21rocsparse_index_base_imNS_24const_host_device_scalarIfEENS7_IdEENS7_IS3_EEb, .Lfunc_end9-_ZN9rocsparseL12csrilu0_hashILj256ELj64ELj4EfEEviPKiS2_PT2_S2_PiS2_S5_S5_d21rocsparse_index_base_imNS_24const_host_device_scalarIfEENS7_IdEENS7_IS3_EEb
                                        ; -- End function
	.set _ZN9rocsparseL12csrilu0_hashILj256ELj64ELj4EfEEviPKiS2_PT2_S2_PiS2_S5_S5_d21rocsparse_index_base_imNS_24const_host_device_scalarIfEENS7_IdEENS7_IS3_EEb.num_vgpr, 24
	.set _ZN9rocsparseL12csrilu0_hashILj256ELj64ELj4EfEEviPKiS2_PT2_S2_PiS2_S5_S5_d21rocsparse_index_base_imNS_24const_host_device_scalarIfEENS7_IdEENS7_IS3_EEb.num_agpr, 0
	.set _ZN9rocsparseL12csrilu0_hashILj256ELj64ELj4EfEEviPKiS2_PT2_S2_PiS2_S5_S5_d21rocsparse_index_base_imNS_24const_host_device_scalarIfEENS7_IdEENS7_IS3_EEb.numbered_sgpr, 62
	.set _ZN9rocsparseL12csrilu0_hashILj256ELj64ELj4EfEEviPKiS2_PT2_S2_PiS2_S5_S5_d21rocsparse_index_base_imNS_24const_host_device_scalarIfEENS7_IdEENS7_IS3_EEb.num_named_barrier, 0
	.set _ZN9rocsparseL12csrilu0_hashILj256ELj64ELj4EfEEviPKiS2_PT2_S2_PiS2_S5_S5_d21rocsparse_index_base_imNS_24const_host_device_scalarIfEENS7_IdEENS7_IS3_EEb.private_seg_size, 0
	.set _ZN9rocsparseL12csrilu0_hashILj256ELj64ELj4EfEEviPKiS2_PT2_S2_PiS2_S5_S5_d21rocsparse_index_base_imNS_24const_host_device_scalarIfEENS7_IdEENS7_IS3_EEb.uses_vcc, 1
	.set _ZN9rocsparseL12csrilu0_hashILj256ELj64ELj4EfEEviPKiS2_PT2_S2_PiS2_S5_S5_d21rocsparse_index_base_imNS_24const_host_device_scalarIfEENS7_IdEENS7_IS3_EEb.uses_flat_scratch, 0
	.set _ZN9rocsparseL12csrilu0_hashILj256ELj64ELj4EfEEviPKiS2_PT2_S2_PiS2_S5_S5_d21rocsparse_index_base_imNS_24const_host_device_scalarIfEENS7_IdEENS7_IS3_EEb.has_dyn_sized_stack, 0
	.set _ZN9rocsparseL12csrilu0_hashILj256ELj64ELj4EfEEviPKiS2_PT2_S2_PiS2_S5_S5_d21rocsparse_index_base_imNS_24const_host_device_scalarIfEENS7_IdEENS7_IS3_EEb.has_recursion, 0
	.set _ZN9rocsparseL12csrilu0_hashILj256ELj64ELj4EfEEviPKiS2_PT2_S2_PiS2_S5_S5_d21rocsparse_index_base_imNS_24const_host_device_scalarIfEENS7_IdEENS7_IS3_EEb.has_indirect_call, 0
	.section	.AMDGPU.csdata,"",@progbits
; Kernel info:
; codeLenInByte = 2464
; TotalNumSgprs: 68
; NumVgprs: 24
; NumAgprs: 0
; TotalNumVgprs: 24
; ScratchSize: 0
; MemoryBound: 0
; FloatMode: 240
; IeeeMode: 1
; LDSByteSize: 8192 bytes/workgroup (compile time only)
; SGPRBlocks: 8
; VGPRBlocks: 2
; NumSGPRsForWavesPerEU: 68
; NumVGPRsForWavesPerEU: 24
; AccumOffset: 24
; Occupancy: 8
; WaveLimiterHint : 1
; COMPUTE_PGM_RSRC2:SCRATCH_EN: 0
; COMPUTE_PGM_RSRC2:USER_SGPR: 2
; COMPUTE_PGM_RSRC2:TRAP_HANDLER: 0
; COMPUTE_PGM_RSRC2:TGID_X_EN: 1
; COMPUTE_PGM_RSRC2:TGID_Y_EN: 0
; COMPUTE_PGM_RSRC2:TGID_Z_EN: 0
; COMPUTE_PGM_RSRC2:TIDIG_COMP_CNT: 0
; COMPUTE_PGM_RSRC3_GFX90A:ACCUM_OFFSET: 5
; COMPUTE_PGM_RSRC3_GFX90A:TG_SPLIT: 0
	.section	.text._ZN9rocsparseL12csrilu0_hashILj256ELj64ELj8EfEEviPKiS2_PT2_S2_PiS2_S5_S5_d21rocsparse_index_base_imNS_24const_host_device_scalarIfEENS7_IdEENS7_IS3_EEb,"axG",@progbits,_ZN9rocsparseL12csrilu0_hashILj256ELj64ELj8EfEEviPKiS2_PT2_S2_PiS2_S5_S5_d21rocsparse_index_base_imNS_24const_host_device_scalarIfEENS7_IdEENS7_IS3_EEb,comdat
	.globl	_ZN9rocsparseL12csrilu0_hashILj256ELj64ELj8EfEEviPKiS2_PT2_S2_PiS2_S5_S5_d21rocsparse_index_base_imNS_24const_host_device_scalarIfEENS7_IdEENS7_IS3_EEb ; -- Begin function _ZN9rocsparseL12csrilu0_hashILj256ELj64ELj8EfEEviPKiS2_PT2_S2_PiS2_S5_S5_d21rocsparse_index_base_imNS_24const_host_device_scalarIfEENS7_IdEENS7_IS3_EEb
	.p2align	8
	.type	_ZN9rocsparseL12csrilu0_hashILj256ELj64ELj8EfEEviPKiS2_PT2_S2_PiS2_S5_S5_d21rocsparse_index_base_imNS_24const_host_device_scalarIfEENS7_IdEENS7_IS3_EEb,@function
_ZN9rocsparseL12csrilu0_hashILj256ELj64ELj8EfEEviPKiS2_PT2_S2_PiS2_S5_S5_d21rocsparse_index_base_imNS_24const_host_device_scalarIfEENS7_IdEENS7_IS3_EEb: ; @_ZN9rocsparseL12csrilu0_hashILj256ELj64ELj8EfEEviPKiS2_PT2_S2_PiS2_S5_S5_d21rocsparse_index_base_imNS_24const_host_device_scalarIfEENS7_IdEENS7_IS3_EEb
; %bb.0:
	s_load_dword s3, s[0:1], 0x78
	s_load_dwordx2 s[28:29], s[0:1], 0x50
	s_load_dwordx8 s[20:27], s[0:1], 0x58
	s_waitcnt lgkmcnt(0)
	s_bitcmp1_b32 s3, 0
	s_cselect_b64 s[4:5], -1, 0
	s_cmp_eq_u32 s29, 0
	s_cselect_b64 s[6:7], -1, 0
	s_cmp_lg_u32 s29, 0
	s_cselect_b64 s[30:31], -1, 0
	s_or_b64 s[4:5], s[6:7], s[4:5]
	s_xor_b64 s[8:9], s[4:5], -1
	s_and_b64 s[10:11], s[6:7], exec
	s_cselect_b32 s11, 0, s25
	s_cselect_b32 s10, 0, s24
	s_and_b64 vcc, exec, s[4:5]
	s_cbranch_vccnz .LBB10_2
; %bb.1:
	s_load_dword s3, s[22:23], 0x0
	s_mov_b64 s[10:11], s[24:25]
	s_waitcnt lgkmcnt(0)
	v_mov_b32_e32 v13, s3
	s_branch .LBB10_3
.LBB10_2:
	v_mov_b32_e32 v1, s22
	v_cndmask_b32_e64 v13, v1, 0, s[6:7]
.LBB10_3:
	v_cndmask_b32_e64 v1, 0, 1, s[8:9]
	v_cmp_ne_u32_e64 s[4:5], 1, v1
	s_andn2_b64 vcc, exec, s[8:9]
	v_mov_b64_e32 v[2:3], s[10:11]
	s_cbranch_vccnz .LBB10_5
; %bb.4:
	v_mov_b64_e32 v[2:3], s[24:25]
	flat_load_dwordx2 v[2:3], v[2:3]
.LBB10_5:
	s_and_b64 vcc, exec, s[4:5]
	s_cbranch_vccnz .LBB10_7
; %bb.6:
	s_load_dword s3, s[26:27], 0x0
	s_waitcnt lgkmcnt(0)
	v_mov_b32_e32 v14, s3
	s_branch .LBB10_8
.LBB10_7:
	v_mov_b32_e32 v1, s26
	v_cndmask_b32_e64 v14, v1, 0, s[6:7]
.LBB10_8:
	s_load_dword s3, s[0:1], 0x0
	v_lshlrev_b32_e32 v1, 3, v0
	s_lshl_b32 s2, s2, 2
	v_and_b32_e32 v12, 63, v0
	v_and_b32_e32 v6, 0x600, v1
	v_mov_b32_e32 v1, 0x2000
	v_lshrrev_b32_e32 v0, 6, v0
	s_and_b32 s2, s2, 0x3fffffc
	v_lshl_or_b32 v5, v6, 2, v1
	v_or_b32_e32 v0, s2, v0
	v_lshl_or_b32 v1, v12, 2, v5
	v_mov_b32_e32 v4, -1
	s_waitcnt lgkmcnt(0)
	v_cmp_gt_i32_e32 vcc, s3, v0
	ds_write2st64_b32 v1, v4, v4 offset1:1
	ds_write2st64_b32 v1, v4, v4 offset0:2 offset1:3
	ds_write2st64_b32 v1, v4, v4 offset0:4 offset1:5
	;; [unrolled: 1-line block ×3, first 2 shown]
	s_waitcnt lgkmcnt(0)
	s_and_saveexec_b64 s[2:3], vcc
	s_cbranch_execz .LBB10_80
; %bb.9:
	s_load_dwordx16 s[4:19], s[0:1], 0x8
	v_lshlrev_b32_e32 v0, 2, v0
	v_lshlrev_b32_e32 v15, 2, v6
	s_waitcnt lgkmcnt(0)
	global_load_dword v0, v0, s[14:15]
	s_waitcnt vmcnt(0)
	v_ashrrev_i32_e32 v1, 31, v0
	v_lshlrev_b64 v[8:9], 2, v[0:1]
	v_lshl_add_u64 v[10:11], s[4:5], 0, v[8:9]
	global_load_dwordx2 v[10:11], v[10:11], off
	v_lshl_add_u64 v[8:9], s[10:11], 0, v[8:9]
	global_load_dword v4, v[8:9], off
	s_waitcnt vmcnt(1)
	v_subrev_u32_e32 v6, s28, v10
	v_subrev_u32_e32 v7, s28, v11
	v_add_u32_e32 v8, v6, v12
	v_cmp_lt_i32_e32 vcc, v8, v7
	s_and_saveexec_b64 s[2:3], vcc
	s_cbranch_execz .LBB10_32
; %bb.10:
	s_mov_b64 s[14:15], 0
	s_movk_i32 s29, 0x67
	v_mov_b32_e32 v10, -1
	s_branch .LBB10_12
.LBB10_11:                              ;   in Loop: Header=BB10_12 Depth=1
	s_or_b64 exec, exec, s[22:23]
	v_add_u32_e32 v8, 64, v8
	v_cmp_ge_i32_e32 vcc, v8, v7
	s_or_b64 s[14:15], vcc, s[14:15]
	s_andn2_b64 exec, exec, s[14:15]
	s_cbranch_execz .LBB10_32
.LBB10_12:                              ; =>This Loop Header: Depth=1
                                        ;     Child Loop BB10_21 Depth 2
	v_ashrrev_i32_e32 v9, 31, v8
	v_lshl_add_u64 v[16:17], v[8:9], 2, s[6:7]
	global_load_dword v9, v[16:17], off
	v_mov_b32_e32 v11, 0x200
	s_mov_b64 s[24:25], 0
                                        ; implicit-def: $sgpr22_sgpr23
                                        ; implicit-def: $sgpr26_sgpr27
                                        ; implicit-def: $sgpr34_sgpr35
	s_waitcnt vmcnt(0)
	v_mul_lo_u32 v17, v9, s29
	s_branch .LBB10_21
.LBB10_13:                              ;   in Loop: Header=BB10_21 Depth=2
	s_or_b64 exec, exec, s[54:55]
	s_orn2_b64 s[50:51], s[50:51], exec
	s_orn2_b64 s[52:53], s[52:53], exec
.LBB10_14:                              ;   in Loop: Header=BB10_21 Depth=2
	s_or_b64 exec, exec, s[48:49]
	s_and_b64 s[50:51], s[50:51], exec
	s_orn2_b64 s[48:49], s[52:53], exec
.LBB10_15:                              ;   in Loop: Header=BB10_21 Depth=2
	s_or_b64 exec, exec, s[46:47]
	s_orn2_b64 s[50:51], s[50:51], exec
	s_orn2_b64 s[46:47], s[48:49], exec
.LBB10_16:                              ;   in Loop: Header=BB10_21 Depth=2
	s_or_b64 exec, exec, s[44:45]
	s_and_b64 s[48:49], s[50:51], exec
	s_orn2_b64 s[44:45], s[46:47], exec
.LBB10_17:                              ;   in Loop: Header=BB10_21 Depth=2
	s_or_b64 exec, exec, s[42:43]
	s_orn2_b64 s[42:43], s[48:49], exec
	s_orn2_b64 s[44:45], s[44:45], exec
.LBB10_18:                              ;   in Loop: Header=BB10_21 Depth=2
	s_or_b64 exec, exec, s[40:41]
	s_and_b64 s[42:43], s[42:43], exec
	s_orn2_b64 s[40:41], s[44:45], exec
.LBB10_19:                              ;   in Loop: Header=BB10_21 Depth=2
	s_or_b64 exec, exec, s[38:39]
	s_andn2_b64 s[34:35], s[34:35], exec
	s_and_b64 s[38:39], s[42:43], exec
	s_or_b64 s[34:35], s[34:35], s[38:39]
	s_andn2_b64 s[26:27], s[26:27], exec
	s_and_b64 s[38:39], s[40:41], exec
	s_or_b64 s[26:27], s[26:27], s[38:39]
.LBB10_20:                              ;   in Loop: Header=BB10_21 Depth=2
	s_or_b64 exec, exec, s[36:37]
	s_and_b64 s[36:37], exec, s[26:27]
	s_or_b64 s[24:25], s[36:37], s[24:25]
	s_andn2_b64 s[22:23], s[22:23], exec
	s_and_b64 s[36:37], s[34:35], exec
	s_or_b64 s[22:23], s[22:23], s[36:37]
	s_andn2_b64 exec, exec, s[24:25]
	s_cbranch_execz .LBB10_30
.LBB10_21:                              ;   Parent Loop BB10_12 Depth=1
                                        ; =>  This Inner Loop Header: Depth=2
	v_and_b32_e32 v16, 0x1ff, v17
	v_lshl_add_u32 v18, v16, 2, v5
	ds_read_b32 v19, v18
	s_or_b64 s[34:35], s[34:35], exec
	s_or_b64 s[26:27], s[26:27], exec
	s_waitcnt lgkmcnt(0)
	v_cmp_ne_u32_e32 vcc, v19, v9
	s_and_saveexec_b64 s[36:37], vcc
	s_cbranch_execz .LBB10_20
; %bb.22:                               ;   in Loop: Header=BB10_21 Depth=2
	ds_cmpst_rtn_b32 v18, v18, v10, v9
	s_mov_b64 s[40:41], -1
	s_mov_b64 s[42:43], 0
	s_waitcnt lgkmcnt(0)
	v_cmp_ne_u32_e32 vcc, -1, v18
	s_and_saveexec_b64 s[38:39], vcc
	s_cbranch_execz .LBB10_19
; %bb.23:                               ;   in Loop: Header=BB10_21 Depth=2
	v_add_u32_e32 v16, 1, v17
	v_and_b32_e32 v16, 0x1ff, v16
	v_lshl_add_u32 v18, v16, 2, v5
	ds_read_b32 v19, v18
	s_mov_b64 s[44:45], -1
	s_mov_b64 s[42:43], -1
	s_waitcnt lgkmcnt(0)
	v_cmp_ne_u32_e32 vcc, v19, v9
	s_and_saveexec_b64 s[40:41], vcc
	s_cbranch_execz .LBB10_18
; %bb.24:                               ;   in Loop: Header=BB10_21 Depth=2
	ds_cmpst_rtn_b32 v18, v18, v10, v9
	s_mov_b64 s[48:49], 0
	s_waitcnt lgkmcnt(0)
	v_cmp_ne_u32_e32 vcc, -1, v18
	s_and_saveexec_b64 s[42:43], vcc
	s_cbranch_execz .LBB10_17
; %bb.25:                               ;   in Loop: Header=BB10_21 Depth=2
	v_add_u32_e32 v16, 2, v17
	v_and_b32_e32 v16, 0x1ff, v16
	v_lshl_add_u32 v18, v16, 2, v5
	ds_read_b32 v19, v18
	s_mov_b64 s[46:47], -1
	s_mov_b64 s[50:51], -1
	s_waitcnt lgkmcnt(0)
	v_cmp_ne_u32_e32 vcc, v19, v9
	s_and_saveexec_b64 s[44:45], vcc
	s_cbranch_execz .LBB10_16
; %bb.26:                               ;   in Loop: Header=BB10_21 Depth=2
	ds_cmpst_rtn_b32 v18, v18, v10, v9
	s_mov_b64 s[48:49], -1
	s_mov_b64 s[50:51], 0
	s_waitcnt lgkmcnt(0)
	v_cmp_ne_u32_e32 vcc, -1, v18
	s_and_saveexec_b64 s[46:47], vcc
	s_cbranch_execz .LBB10_15
; %bb.27:                               ;   in Loop: Header=BB10_21 Depth=2
	v_add_u32_e32 v16, 3, v17
	v_and_b32_e32 v16, 0x1ff, v16
	v_lshl_add_u32 v18, v16, 2, v5
	ds_read_b32 v17, v18
	s_mov_b64 s[52:53], -1
	s_mov_b64 s[50:51], -1
	s_waitcnt lgkmcnt(0)
	v_cmp_ne_u32_e32 vcc, v17, v9
                                        ; implicit-def: $vgpr17
	s_and_saveexec_b64 s[48:49], vcc
	s_cbranch_execz .LBB10_14
; %bb.28:                               ;   in Loop: Header=BB10_21 Depth=2
	ds_cmpst_rtn_b32 v17, v18, v10, v9
	s_mov_b64 s[50:51], 0
	s_waitcnt lgkmcnt(0)
	v_cmp_ne_u32_e32 vcc, -1, v17
                                        ; implicit-def: $vgpr17
	s_and_saveexec_b64 s[54:55], vcc
	s_cbranch_execz .LBB10_13
; %bb.29:                               ;   in Loop: Header=BB10_21 Depth=2
	v_add_u32_e32 v11, -4, v11
	v_cmp_eq_u32_e32 vcc, 0, v11
	s_mov_b64 s[50:51], exec
	v_add_u32_e32 v17, 1, v16
	s_orn2_b64 s[52:53], vcc, exec
	s_branch .LBB10_13
.LBB10_30:                              ;   in Loop: Header=BB10_12 Depth=1
	s_or_b64 exec, exec, s[24:25]
	s_xor_b64 s[22:23], s[22:23], -1
	s_and_saveexec_b64 s[24:25], s[22:23]
	s_xor_b64 s[22:23], exec, s[24:25]
	s_cbranch_execz .LBB10_11
; %bb.31:                               ;   in Loop: Header=BB10_12 Depth=1
	v_lshl_add_u32 v9, v16, 2, v15
	ds_write_b32 v9, v8
	s_branch .LBB10_11
.LBB10_32:
	s_or_b64 exec, exec, s[2:3]
	s_waitcnt vmcnt(0)
	v_cmp_lt_i32_e32 vcc, v6, v4
	s_waitcnt lgkmcnt(0)
	s_and_saveexec_b64 s[2:3], vcc
	s_cbranch_execz .LBB10_62
; %bb.33:
	v_add_u32_e32 v16, 1, v12
	s_mov_b64 s[14:15], 0
	s_movk_i32 s29, 0x67
	s_branch .LBB10_36
.LBB10_34:                              ;   in Loop: Header=BB10_36 Depth=1
	s_or_b64 exec, exec, s[24:25]
	v_add_u32_e32 v6, 1, v6
	v_cmp_ge_i32_e32 vcc, v6, v4
	s_orn2_b64 s[24:25], vcc, exec
.LBB10_35:                              ;   in Loop: Header=BB10_36 Depth=1
	s_or_b64 exec, exec, s[22:23]
	s_and_b64 s[22:23], exec, s[24:25]
	s_or_b64 s[14:15], s[22:23], s[14:15]
	s_andn2_b64 exec, exec, s[14:15]
	s_cbranch_execz .LBB10_62
.LBB10_36:                              ; =>This Loop Header: Depth=1
                                        ;     Child Loop BB10_37 Depth 2
                                        ;     Child Loop BB10_42 Depth 2
                                        ;       Child Loop BB10_51 Depth 3
	v_ashrrev_i32_e32 v7, 31, v6
	v_lshlrev_b64 v[8:9], 2, v[6:7]
	v_lshl_add_u64 v[10:11], s[6:7], 0, v[8:9]
	global_load_dword v7, v[10:11], off
	v_lshl_add_u64 v[8:9], s[8:9], 0, v[8:9]
	global_load_dword v17, v[8:9], off
	s_mov_b64 s[22:23], 0
	s_waitcnt vmcnt(1)
	v_subrev_u32_e32 v10, s28, v7
	v_ashrrev_i32_e32 v11, 31, v10
	v_lshlrev_b64 v[10:11], 2, v[10:11]
	v_lshl_add_u64 v[20:21], s[4:5], 0, v[10:11]
	v_lshl_add_u64 v[22:23], s[10:11], 0, v[10:11]
	global_load_dword v7, v[20:21], off offset:4
	global_load_dword v18, v[22:23], off
	v_lshl_add_u64 v[10:11], s[12:13], 0, v[10:11]
.LBB10_37:                              ;   Parent Loop BB10_36 Depth=1
                                        ; =>  This Inner Loop Header: Depth=2
	global_load_dword v19, v[10:11], off sc1
	s_waitcnt vmcnt(0)
	v_cmp_ne_u32_e32 vcc, 0, v19
	s_or_b64 s[22:23], vcc, s[22:23]
	s_andn2_b64 exec, exec, s[22:23]
	s_cbranch_execnz .LBB10_37
; %bb.38:                               ;   in Loop: Header=BB10_36 Depth=1
	s_or_b64 exec, exec, s[22:23]
	v_subrev_u32_e32 v7, s28, v7
	v_add_u32_e32 v10, -1, v7
	v_cmp_eq_u32_e32 vcc, -1, v18
	buffer_inv sc1
	s_mov_b64 s[24:25], -1
	v_cndmask_b32_e32 v10, v18, v10, vcc
	v_ashrrev_i32_e32 v11, 31, v10
	v_lshl_add_u64 v[18:19], v[10:11], 2, s[8:9]
	global_load_dword v11, v[18:19], off
	s_waitcnt vmcnt(0)
	v_cmp_neq_f32_e32 vcc, 0, v11
	s_and_saveexec_b64 s[22:23], vcc
	s_cbranch_execz .LBB10_35
; %bb.39:                               ;   in Loop: Header=BB10_36 Depth=1
	v_div_scale_f32 v18, s[24:25], v11, v11, v17
	v_rcp_f32_e32 v19, v18
	v_div_scale_f32 v20, vcc, v17, v11, v17
	v_fma_f32 v21, -v18, v19, 1.0
	v_fmac_f32_e32 v19, v21, v19
	v_mul_f32_e32 v21, v20, v19
	v_fma_f32 v22, -v18, v21, v20
	v_fmac_f32_e32 v21, v22, v19
	v_fma_f32 v18, -v18, v21, v20
	v_div_fmas_f32 v18, v18, v19, v21
	v_div_fixup_f32 v11, v18, v11, v17
	global_store_dword v[8:9], v11, off
	v_add_u32_e32 v8, v16, v10
	v_cmp_lt_i32_e32 vcc, v8, v7
	s_and_saveexec_b64 s[24:25], vcc
	s_cbranch_execz .LBB10_34
; %bb.40:                               ;   in Loop: Header=BB10_36 Depth=1
	s_mov_b64 s[26:27], 0
	s_branch .LBB10_42
.LBB10_41:                              ;   in Loop: Header=BB10_42 Depth=2
	s_or_b64 exec, exec, s[34:35]
	v_add_u32_e32 v8, 64, v8
	v_cmp_ge_i32_e32 vcc, v8, v7
	s_or_b64 s[26:27], vcc, s[26:27]
	s_andn2_b64 exec, exec, s[26:27]
	s_cbranch_execz .LBB10_34
.LBB10_42:                              ;   Parent Loop BB10_36 Depth=1
                                        ; =>  This Loop Header: Depth=2
                                        ;       Child Loop BB10_51 Depth 3
	v_ashrrev_i32_e32 v9, 31, v8
	v_lshl_add_u64 v[18:19], v[8:9], 2, s[6:7]
	global_load_dword v10, v[18:19], off
	v_mov_b32_e32 v17, 0x200
	s_mov_b64 s[36:37], 0
                                        ; implicit-def: $sgpr34_sgpr35
                                        ; implicit-def: $sgpr38_sgpr39
                                        ; implicit-def: $sgpr40_sgpr41
	s_waitcnt vmcnt(0)
	v_mul_lo_u32 v19, v10, s29
	s_branch .LBB10_51
.LBB10_43:                              ;   in Loop: Header=BB10_51 Depth=3
	s_or_b64 exec, exec, s[60:61]
	s_orn2_b64 s[56:57], s[56:57], exec
	s_orn2_b64 s[58:59], s[58:59], exec
.LBB10_44:                              ;   in Loop: Header=BB10_51 Depth=3
	s_or_b64 exec, exec, s[54:55]
	s_and_b64 s[56:57], s[56:57], exec
	s_orn2_b64 s[54:55], s[58:59], exec
.LBB10_45:                              ;   in Loop: Header=BB10_51 Depth=3
	s_or_b64 exec, exec, s[52:53]
	s_orn2_b64 s[56:57], s[56:57], exec
	s_orn2_b64 s[52:53], s[54:55], exec
.LBB10_46:                              ;   in Loop: Header=BB10_51 Depth=3
	s_or_b64 exec, exec, s[50:51]
	s_and_b64 s[54:55], s[56:57], exec
	s_orn2_b64 s[50:51], s[52:53], exec
.LBB10_47:                              ;   in Loop: Header=BB10_51 Depth=3
	s_or_b64 exec, exec, s[48:49]
	s_orn2_b64 s[48:49], s[54:55], exec
	s_orn2_b64 s[50:51], s[50:51], exec
.LBB10_48:                              ;   in Loop: Header=BB10_51 Depth=3
	s_or_b64 exec, exec, s[46:47]
	s_and_b64 s[48:49], s[48:49], exec
	s_orn2_b64 s[46:47], s[50:51], exec
.LBB10_49:                              ;   in Loop: Header=BB10_51 Depth=3
	s_or_b64 exec, exec, s[44:45]
	s_andn2_b64 s[40:41], s[40:41], exec
	s_and_b64 s[44:45], s[48:49], exec
	s_or_b64 s[40:41], s[40:41], s[44:45]
	s_andn2_b64 s[38:39], s[38:39], exec
	s_and_b64 s[44:45], s[46:47], exec
	s_or_b64 s[38:39], s[38:39], s[44:45]
.LBB10_50:                              ;   in Loop: Header=BB10_51 Depth=3
	s_or_b64 exec, exec, s[42:43]
	s_and_b64 s[42:43], exec, s[38:39]
	s_or_b64 s[36:37], s[42:43], s[36:37]
	s_andn2_b64 s[34:35], s[34:35], exec
	s_and_b64 s[42:43], s[40:41], exec
	s_or_b64 s[34:35], s[34:35], s[42:43]
	s_andn2_b64 exec, exec, s[36:37]
	s_cbranch_execz .LBB10_60
.LBB10_51:                              ;   Parent Loop BB10_36 Depth=1
                                        ;     Parent Loop BB10_42 Depth=2
                                        ; =>    This Inner Loop Header: Depth=3
	v_and_b32_e32 v18, 0x1ff, v19
	v_lshl_add_u32 v20, v18, 2, v5
	ds_read_b32 v20, v20
	s_or_b64 s[40:41], s[40:41], exec
	s_or_b64 s[38:39], s[38:39], exec
	s_waitcnt lgkmcnt(0)
	v_cmp_ne_u32_e32 vcc, -1, v20
	s_and_saveexec_b64 s[42:43], vcc
	s_cbranch_execz .LBB10_50
; %bb.52:                               ;   in Loop: Header=BB10_51 Depth=3
	v_cmp_ne_u32_e32 vcc, v20, v10
	s_mov_b64 s[46:47], -1
	s_mov_b64 s[48:49], 0
	s_and_saveexec_b64 s[44:45], vcc
	s_cbranch_execz .LBB10_49
; %bb.53:                               ;   in Loop: Header=BB10_51 Depth=3
	v_add_u32_e32 v18, 1, v19
	v_and_b32_e32 v18, 0x1ff, v18
	v_lshl_add_u32 v20, v18, 2, v5
	ds_read_b32 v20, v20
	s_mov_b64 s[50:51], -1
	s_mov_b64 s[48:49], -1
	s_waitcnt lgkmcnt(0)
	v_cmp_ne_u32_e32 vcc, -1, v20
	s_and_saveexec_b64 s[46:47], vcc
	s_cbranch_execz .LBB10_48
; %bb.54:                               ;   in Loop: Header=BB10_51 Depth=3
	v_cmp_ne_u32_e32 vcc, v20, v10
	s_mov_b64 s[54:55], 0
	s_and_saveexec_b64 s[48:49], vcc
	s_cbranch_execz .LBB10_47
; %bb.55:                               ;   in Loop: Header=BB10_51 Depth=3
	v_add_u32_e32 v18, 2, v19
	v_and_b32_e32 v18, 0x1ff, v18
	v_lshl_add_u32 v20, v18, 2, v5
	ds_read_b32 v20, v20
	s_mov_b64 s[52:53], -1
	s_mov_b64 s[56:57], -1
	s_waitcnt lgkmcnt(0)
	v_cmp_ne_u32_e32 vcc, -1, v20
	s_and_saveexec_b64 s[50:51], vcc
	s_cbranch_execz .LBB10_46
; %bb.56:                               ;   in Loop: Header=BB10_51 Depth=3
	v_cmp_ne_u32_e32 vcc, v20, v10
	s_mov_b64 s[54:55], -1
	s_mov_b64 s[56:57], 0
	s_and_saveexec_b64 s[52:53], vcc
	s_cbranch_execz .LBB10_45
; %bb.57:                               ;   in Loop: Header=BB10_51 Depth=3
	v_add_u32_e32 v18, 3, v19
	v_and_b32_e32 v18, 0x1ff, v18
	v_lshl_add_u32 v19, v18, 2, v5
	ds_read_b32 v20, v19
	s_mov_b64 s[58:59], -1
	s_mov_b64 s[56:57], -1
                                        ; implicit-def: $vgpr19
	s_waitcnt lgkmcnt(0)
	v_cmp_ne_u32_e32 vcc, -1, v20
	s_and_saveexec_b64 s[54:55], vcc
	s_cbranch_execz .LBB10_44
; %bb.58:                               ;   in Loop: Header=BB10_51 Depth=3
	v_cmp_ne_u32_e32 vcc, v20, v10
	s_mov_b64 s[56:57], 0
                                        ; implicit-def: $vgpr19
	s_and_saveexec_b64 s[60:61], vcc
	s_cbranch_execz .LBB10_43
; %bb.59:                               ;   in Loop: Header=BB10_51 Depth=3
	v_add_u32_e32 v17, -4, v17
	v_cmp_eq_u32_e32 vcc, 0, v17
	s_mov_b64 s[56:57], exec
	v_add_u32_e32 v19, 1, v18
	s_orn2_b64 s[58:59], vcc, exec
	s_branch .LBB10_43
.LBB10_60:                              ;   in Loop: Header=BB10_42 Depth=2
	s_or_b64 exec, exec, s[36:37]
	s_xor_b64 s[34:35], s[34:35], -1
	s_and_saveexec_b64 s[36:37], s[34:35]
	s_xor_b64 s[34:35], exec, s[36:37]
	s_cbranch_execz .LBB10_41
; %bb.61:                               ;   in Loop: Header=BB10_42 Depth=2
	v_lshl_add_u32 v10, v18, 2, v15
	ds_read_b32 v18, v10
	v_lshl_add_u64 v[20:21], v[8:9], 2, s[8:9]
	s_waitcnt lgkmcnt(0)
	v_ashrrev_i32_e32 v19, 31, v18
	v_lshl_add_u64 v[18:19], v[18:19], 2, s[8:9]
	global_load_dword v9, v[20:21], off
	global_load_dword v10, v[18:19], off
	s_waitcnt vmcnt(0)
	v_fma_f32 v9, -v11, v9, v10
	global_store_dword v[18:19], v9, off
	s_branch .LBB10_41
.LBB10_62:
	s_or_b64 exec, exec, s[2:3]
	v_cmp_lt_i32_e32 vcc, -1, v4
	s_and_saveexec_b64 s[6:7], vcc
	s_cbranch_execz .LBB10_78
; %bb.63:
	v_mov_b32_e32 v5, 0
	v_lshl_add_u64 v[6:7], v[4:5], 2, s[8:9]
	global_load_dword v8, v[6:7], off
	v_cmp_eq_u32_e64 s[2:3], 0, v12
	s_andn2_b64 vcc, exec, s[30:31]
	s_waitcnt vmcnt(0)
	v_cmp_gt_f32_e64 s[4:5], 0, v8
	s_nop 1
	v_cndmask_b32_e64 v4, v8, -v8, s[4:5]
	v_cvt_f64_f32_e32 v[4:5], v4
	s_mov_b64 s[4:5], -1
	s_cbranch_vccnz .LBB10_67
; %bb.64:
	s_cmp_eq_u64 s[20:21], 8
	v_cvt_f64_f32_e32 v[10:11], v13
	s_cselect_b64 vcc, -1, 0
	v_cndmask_b32_e32 v3, v11, v3, vcc
	v_cndmask_b32_e32 v2, v10, v2, vcc
	v_cmp_ge_f64_e32 vcc, v[2:3], v[4:5]
	s_and_b64 s[8:9], s[2:3], vcc
	s_and_saveexec_b64 s[4:5], s[8:9]
	s_cbranch_execz .LBB10_66
; %bb.65:
	global_store_dword v[6:7], v14, off
	buffer_wbl2 sc1
	s_waitcnt vmcnt(0)
	buffer_inv sc1
.LBB10_66:
	s_or_b64 exec, exec, s[4:5]
	s_mov_b64 s[4:5], 0
.LBB10_67:
	s_andn2_b64 vcc, exec, s[4:5]
	s_cbranch_vccnz .LBB10_78
; %bb.68:
	s_load_dwordx2 s[0:1], s[0:1], 0x48
	v_add_u32_e32 v2, s28, v0
	s_waitcnt lgkmcnt(0)
	v_cmp_ge_f64_e32 vcc, s[0:1], v[4:5]
	s_and_b64 s[4:5], s[2:3], vcc
	s_and_saveexec_b64 s[0:1], s[4:5]
	s_cbranch_execz .LBB10_73
; %bb.69:
	s_mov_b64 s[4:5], exec
	s_brev_b32 s8, -2
.LBB10_70:                              ; =>This Inner Loop Header: Depth=1
	s_ff1_i32_b64 s9, s[4:5]
	v_readlane_b32 s14, v2, s9
	s_lshl_b64 s[10:11], 1, s9
	s_min_i32 s8, s8, s14
	s_andn2_b64 s[4:5], s[4:5], s[10:11]
	s_cmp_lg_u64 s[4:5], 0
	s_cbranch_scc1 .LBB10_70
; %bb.71:
	v_mbcnt_lo_u32_b32 v3, exec_lo, 0
	v_mbcnt_hi_u32_b32 v3, exec_hi, v3
	v_cmp_eq_u32_e32 vcc, 0, v3
	s_and_saveexec_b64 s[4:5], vcc
	s_xor_b64 s[4:5], exec, s[4:5]
	s_cbranch_execz .LBB10_73
; %bb.72:
	v_mov_b32_e32 v3, 0
	v_mov_b32_e32 v4, s8
	global_atomic_smin v3, v4, s[18:19]
.LBB10_73:
	s_or_b64 exec, exec, s[0:1]
	v_cmp_eq_f32_e32 vcc, 0, v8
	s_and_b64 s[0:1], s[2:3], vcc
	s_and_b64 exec, exec, s[0:1]
	s_cbranch_execz .LBB10_78
; %bb.74:
	s_mov_b64 s[0:1], exec
	s_brev_b32 s2, -2
.LBB10_75:                              ; =>This Inner Loop Header: Depth=1
	s_ff1_i32_b64 s3, s[0:1]
	v_readlane_b32 s8, v2, s3
	s_lshl_b64 s[4:5], 1, s3
	s_min_i32 s2, s2, s8
	s_andn2_b64 s[0:1], s[0:1], s[4:5]
	s_cmp_lg_u64 s[0:1], 0
	s_cbranch_scc1 .LBB10_75
; %bb.76:
	v_mbcnt_lo_u32_b32 v2, exec_lo, 0
	v_mbcnt_hi_u32_b32 v2, exec_hi, v2
	v_cmp_eq_u32_e32 vcc, 0, v2
	s_and_saveexec_b64 s[0:1], vcc
	s_xor_b64 s[0:1], exec, s[0:1]
	s_cbranch_execz .LBB10_78
; %bb.77:
	v_mov_b32_e32 v2, 0
	v_mov_b32_e32 v3, s2
	global_atomic_smin v2, v3, s[16:17]
.LBB10_78:
	s_or_b64 exec, exec, s[6:7]
	v_cmp_eq_u32_e32 vcc, 0, v12
	buffer_wbl2 sc1
	s_waitcnt vmcnt(0)
	buffer_inv sc1
	s_and_b64 exec, exec, vcc
	s_cbranch_execz .LBB10_80
; %bb.79:
	v_lshl_add_u64 v[0:1], v[0:1], 2, s[12:13]
	v_mov_b32_e32 v2, 1
	buffer_wbl2 sc1
	global_store_dword v[0:1], v2, off sc1
.LBB10_80:
	s_endpgm
	.section	.rodata,"a",@progbits
	.p2align	6, 0x0
	.amdhsa_kernel _ZN9rocsparseL12csrilu0_hashILj256ELj64ELj8EfEEviPKiS2_PT2_S2_PiS2_S5_S5_d21rocsparse_index_base_imNS_24const_host_device_scalarIfEENS7_IdEENS7_IS3_EEb
		.amdhsa_group_segment_fixed_size 16384
		.amdhsa_private_segment_fixed_size 0
		.amdhsa_kernarg_size 124
		.amdhsa_user_sgpr_count 2
		.amdhsa_user_sgpr_dispatch_ptr 0
		.amdhsa_user_sgpr_queue_ptr 0
		.amdhsa_user_sgpr_kernarg_segment_ptr 1
		.amdhsa_user_sgpr_dispatch_id 0
		.amdhsa_user_sgpr_kernarg_preload_length 0
		.amdhsa_user_sgpr_kernarg_preload_offset 0
		.amdhsa_user_sgpr_private_segment_size 0
		.amdhsa_uses_dynamic_stack 0
		.amdhsa_enable_private_segment 0
		.amdhsa_system_sgpr_workgroup_id_x 1
		.amdhsa_system_sgpr_workgroup_id_y 0
		.amdhsa_system_sgpr_workgroup_id_z 0
		.amdhsa_system_sgpr_workgroup_info 0
		.amdhsa_system_vgpr_workitem_id 0
		.amdhsa_next_free_vgpr 24
		.amdhsa_next_free_sgpr 62
		.amdhsa_accum_offset 24
		.amdhsa_reserve_vcc 1
		.amdhsa_float_round_mode_32 0
		.amdhsa_float_round_mode_16_64 0
		.amdhsa_float_denorm_mode_32 3
		.amdhsa_float_denorm_mode_16_64 3
		.amdhsa_dx10_clamp 1
		.amdhsa_ieee_mode 1
		.amdhsa_fp16_overflow 0
		.amdhsa_tg_split 0
		.amdhsa_exception_fp_ieee_invalid_op 0
		.amdhsa_exception_fp_denorm_src 0
		.amdhsa_exception_fp_ieee_div_zero 0
		.amdhsa_exception_fp_ieee_overflow 0
		.amdhsa_exception_fp_ieee_underflow 0
		.amdhsa_exception_fp_ieee_inexact 0
		.amdhsa_exception_int_div_zero 0
	.end_amdhsa_kernel
	.section	.text._ZN9rocsparseL12csrilu0_hashILj256ELj64ELj8EfEEviPKiS2_PT2_S2_PiS2_S5_S5_d21rocsparse_index_base_imNS_24const_host_device_scalarIfEENS7_IdEENS7_IS3_EEb,"axG",@progbits,_ZN9rocsparseL12csrilu0_hashILj256ELj64ELj8EfEEviPKiS2_PT2_S2_PiS2_S5_S5_d21rocsparse_index_base_imNS_24const_host_device_scalarIfEENS7_IdEENS7_IS3_EEb,comdat
.Lfunc_end10:
	.size	_ZN9rocsparseL12csrilu0_hashILj256ELj64ELj8EfEEviPKiS2_PT2_S2_PiS2_S5_S5_d21rocsparse_index_base_imNS_24const_host_device_scalarIfEENS7_IdEENS7_IS3_EEb, .Lfunc_end10-_ZN9rocsparseL12csrilu0_hashILj256ELj64ELj8EfEEviPKiS2_PT2_S2_PiS2_S5_S5_d21rocsparse_index_base_imNS_24const_host_device_scalarIfEENS7_IdEENS7_IS3_EEb
                                        ; -- End function
	.set _ZN9rocsparseL12csrilu0_hashILj256ELj64ELj8EfEEviPKiS2_PT2_S2_PiS2_S5_S5_d21rocsparse_index_base_imNS_24const_host_device_scalarIfEENS7_IdEENS7_IS3_EEb.num_vgpr, 24
	.set _ZN9rocsparseL12csrilu0_hashILj256ELj64ELj8EfEEviPKiS2_PT2_S2_PiS2_S5_S5_d21rocsparse_index_base_imNS_24const_host_device_scalarIfEENS7_IdEENS7_IS3_EEb.num_agpr, 0
	.set _ZN9rocsparseL12csrilu0_hashILj256ELj64ELj8EfEEviPKiS2_PT2_S2_PiS2_S5_S5_d21rocsparse_index_base_imNS_24const_host_device_scalarIfEENS7_IdEENS7_IS3_EEb.numbered_sgpr, 62
	.set _ZN9rocsparseL12csrilu0_hashILj256ELj64ELj8EfEEviPKiS2_PT2_S2_PiS2_S5_S5_d21rocsparse_index_base_imNS_24const_host_device_scalarIfEENS7_IdEENS7_IS3_EEb.num_named_barrier, 0
	.set _ZN9rocsparseL12csrilu0_hashILj256ELj64ELj8EfEEviPKiS2_PT2_S2_PiS2_S5_S5_d21rocsparse_index_base_imNS_24const_host_device_scalarIfEENS7_IdEENS7_IS3_EEb.private_seg_size, 0
	.set _ZN9rocsparseL12csrilu0_hashILj256ELj64ELj8EfEEviPKiS2_PT2_S2_PiS2_S5_S5_d21rocsparse_index_base_imNS_24const_host_device_scalarIfEENS7_IdEENS7_IS3_EEb.uses_vcc, 1
	.set _ZN9rocsparseL12csrilu0_hashILj256ELj64ELj8EfEEviPKiS2_PT2_S2_PiS2_S5_S5_d21rocsparse_index_base_imNS_24const_host_device_scalarIfEENS7_IdEENS7_IS3_EEb.uses_flat_scratch, 0
	.set _ZN9rocsparseL12csrilu0_hashILj256ELj64ELj8EfEEviPKiS2_PT2_S2_PiS2_S5_S5_d21rocsparse_index_base_imNS_24const_host_device_scalarIfEENS7_IdEENS7_IS3_EEb.has_dyn_sized_stack, 0
	.set _ZN9rocsparseL12csrilu0_hashILj256ELj64ELj8EfEEviPKiS2_PT2_S2_PiS2_S5_S5_d21rocsparse_index_base_imNS_24const_host_device_scalarIfEENS7_IdEENS7_IS3_EEb.has_recursion, 0
	.set _ZN9rocsparseL12csrilu0_hashILj256ELj64ELj8EfEEviPKiS2_PT2_S2_PiS2_S5_S5_d21rocsparse_index_base_imNS_24const_host_device_scalarIfEENS7_IdEENS7_IS3_EEb.has_indirect_call, 0
	.section	.AMDGPU.csdata,"",@progbits
; Kernel info:
; codeLenInByte = 2480
; TotalNumSgprs: 68
; NumVgprs: 24
; NumAgprs: 0
; TotalNumVgprs: 24
; ScratchSize: 0
; MemoryBound: 0
; FloatMode: 240
; IeeeMode: 1
; LDSByteSize: 16384 bytes/workgroup (compile time only)
; SGPRBlocks: 8
; VGPRBlocks: 2
; NumSGPRsForWavesPerEU: 68
; NumVGPRsForWavesPerEU: 24
; AccumOffset: 24
; Occupancy: 8
; WaveLimiterHint : 1
; COMPUTE_PGM_RSRC2:SCRATCH_EN: 0
; COMPUTE_PGM_RSRC2:USER_SGPR: 2
; COMPUTE_PGM_RSRC2:TRAP_HANDLER: 0
; COMPUTE_PGM_RSRC2:TGID_X_EN: 1
; COMPUTE_PGM_RSRC2:TGID_Y_EN: 0
; COMPUTE_PGM_RSRC2:TGID_Z_EN: 0
; COMPUTE_PGM_RSRC2:TIDIG_COMP_CNT: 0
; COMPUTE_PGM_RSRC3_GFX90A:ACCUM_OFFSET: 5
; COMPUTE_PGM_RSRC3_GFX90A:TG_SPLIT: 0
	.section	.text._ZN9rocsparseL12csrilu0_hashILj256ELj64ELj16EfEEviPKiS2_PT2_S2_PiS2_S5_S5_d21rocsparse_index_base_imNS_24const_host_device_scalarIfEENS7_IdEENS7_IS3_EEb,"axG",@progbits,_ZN9rocsparseL12csrilu0_hashILj256ELj64ELj16EfEEviPKiS2_PT2_S2_PiS2_S5_S5_d21rocsparse_index_base_imNS_24const_host_device_scalarIfEENS7_IdEENS7_IS3_EEb,comdat
	.globl	_ZN9rocsparseL12csrilu0_hashILj256ELj64ELj16EfEEviPKiS2_PT2_S2_PiS2_S5_S5_d21rocsparse_index_base_imNS_24const_host_device_scalarIfEENS7_IdEENS7_IS3_EEb ; -- Begin function _ZN9rocsparseL12csrilu0_hashILj256ELj64ELj16EfEEviPKiS2_PT2_S2_PiS2_S5_S5_d21rocsparse_index_base_imNS_24const_host_device_scalarIfEENS7_IdEENS7_IS3_EEb
	.p2align	8
	.type	_ZN9rocsparseL12csrilu0_hashILj256ELj64ELj16EfEEviPKiS2_PT2_S2_PiS2_S5_S5_d21rocsparse_index_base_imNS_24const_host_device_scalarIfEENS7_IdEENS7_IS3_EEb,@function
_ZN9rocsparseL12csrilu0_hashILj256ELj64ELj16EfEEviPKiS2_PT2_S2_PiS2_S5_S5_d21rocsparse_index_base_imNS_24const_host_device_scalarIfEENS7_IdEENS7_IS3_EEb: ; @_ZN9rocsparseL12csrilu0_hashILj256ELj64ELj16EfEEviPKiS2_PT2_S2_PiS2_S5_S5_d21rocsparse_index_base_imNS_24const_host_device_scalarIfEENS7_IdEENS7_IS3_EEb
; %bb.0:
	s_load_dword s3, s[0:1], 0x78
	s_load_dwordx2 s[28:29], s[0:1], 0x50
	s_load_dwordx8 s[20:27], s[0:1], 0x58
	s_waitcnt lgkmcnt(0)
	s_bitcmp1_b32 s3, 0
	s_cselect_b64 s[4:5], -1, 0
	s_cmp_eq_u32 s29, 0
	s_cselect_b64 s[6:7], -1, 0
	s_cmp_lg_u32 s29, 0
	s_cselect_b64 s[30:31], -1, 0
	s_or_b64 s[4:5], s[6:7], s[4:5]
	s_xor_b64 s[8:9], s[4:5], -1
	s_and_b64 s[10:11], s[6:7], exec
	s_cselect_b32 s11, 0, s25
	s_cselect_b32 s10, 0, s24
	s_and_b64 vcc, exec, s[4:5]
	s_cbranch_vccnz .LBB11_2
; %bb.1:
	s_load_dword s3, s[22:23], 0x0
	s_mov_b64 s[10:11], s[24:25]
	s_waitcnt lgkmcnt(0)
	v_mov_b32_e32 v13, s3
	s_branch .LBB11_3
.LBB11_2:
	v_mov_b32_e32 v1, s22
	v_cndmask_b32_e64 v13, v1, 0, s[6:7]
.LBB11_3:
	v_cndmask_b32_e64 v1, 0, 1, s[8:9]
	v_cmp_ne_u32_e64 s[4:5], 1, v1
	s_andn2_b64 vcc, exec, s[8:9]
	v_mov_b64_e32 v[4:5], s[10:11]
	s_cbranch_vccnz .LBB11_5
; %bb.4:
	v_mov_b64_e32 v[2:3], s[24:25]
	flat_load_dwordx2 v[4:5], v[2:3]
.LBB11_5:
	s_and_b64 vcc, exec, s[4:5]
	s_cbranch_vccnz .LBB11_7
; %bb.6:
	s_load_dword s3, s[26:27], 0x0
	s_waitcnt lgkmcnt(0)
	v_mov_b32_e32 v14, s3
	s_branch .LBB11_8
.LBB11_7:
	v_mov_b32_e32 v1, s26
	v_cndmask_b32_e64 v14, v1, 0, s[6:7]
.LBB11_8:
	v_and_b32_e32 v12, 63, v0
	v_lshrrev_b32_e32 v1, 6, v0
	v_lshlrev_b32_e32 v3, 12, v1
	v_lshlrev_b32_e32 v6, 2, v12
	s_movk_i32 s3, 0x4000
	v_or_b32_e32 v2, 0xffffffc0, v12
	v_or3_b32 v3, v3, v6, s3
	s_mov_b64 s[4:5], 0
	v_mov_b32_e32 v6, -1
	s_movk_i32 s3, 0x3bf
.LBB11_9:                               ; =>This Inner Loop Header: Depth=1
	v_add_u32_e32 v2, 64, v2
	v_cmp_lt_u32_e32 vcc, s3, v2
	ds_write_b32 v3, v6
	s_or_b64 s[4:5], vcc, s[4:5]
	v_add_u32_e32 v3, 0x100, v3
	s_andn2_b64 exec, exec, s[4:5]
	s_cbranch_execnz .LBB11_9
; %bb.10:
	s_or_b64 exec, exec, s[4:5]
	s_load_dword s3, s[0:1], 0x0
	s_lshl_b32 s2, s2, 2
	s_and_b32 s2, s2, 0x3fffffc
	v_or_b32_e32 v1, s2, v1
	s_waitcnt lgkmcnt(0)
	v_cmp_gt_i32_e32 vcc, s3, v1
	s_and_saveexec_b64 s[2:3], vcc
	s_cbranch_execz .LBB11_82
; %bb.11:
	s_load_dwordx16 s[4:19], s[0:1], 0x8
	v_lshlrev_b32_e32 v1, 2, v1
	v_lshlrev_b32_e32 v0, 6, v0
	s_waitcnt lgkmcnt(0)
	global_load_dword v2, v1, s[14:15]
	s_waitcnt vmcnt(0)
	v_ashrrev_i32_e32 v3, 31, v2
	v_lshlrev_b64 v[6:7], 2, v[2:3]
	v_lshl_add_u64 v[8:9], s[4:5], 0, v[6:7]
	global_load_dwordx2 v[8:9], v[8:9], off
	v_lshl_add_u64 v[6:7], s[10:11], 0, v[6:7]
	global_load_dword v6, v[6:7], off
	v_and_b32_e32 v7, 0x3000, v0
	v_or_b32_e32 v15, 0x4000, v7
	s_waitcnt vmcnt(1)
	v_subrev_u32_e32 v0, s28, v8
	v_subrev_u32_e32 v1, s28, v9
	v_add_u32_e32 v8, v0, v12
	v_cmp_lt_i32_e32 vcc, v8, v1
	s_and_saveexec_b64 s[2:3], vcc
	s_cbranch_execz .LBB11_34
; %bb.12:
	s_mov_b64 s[14:15], 0
	s_movk_i32 s29, 0x67
	v_mov_b32_e32 v10, -1
	s_branch .LBB11_14
.LBB11_13:                              ;   in Loop: Header=BB11_14 Depth=1
	s_or_b64 exec, exec, s[22:23]
	v_add_u32_e32 v8, 64, v8
	v_cmp_ge_i32_e32 vcc, v8, v1
	s_or_b64 s[14:15], vcc, s[14:15]
	s_andn2_b64 exec, exec, s[14:15]
	s_cbranch_execz .LBB11_34
.LBB11_14:                              ; =>This Loop Header: Depth=1
                                        ;     Child Loop BB11_23 Depth 2
	v_ashrrev_i32_e32 v9, 31, v8
	v_lshl_add_u64 v[16:17], v[8:9], 2, s[6:7]
	global_load_dword v9, v[16:17], off
	v_mov_b32_e32 v11, 0x400
	s_mov_b64 s[24:25], 0
                                        ; implicit-def: $sgpr22_sgpr23
                                        ; implicit-def: $sgpr26_sgpr27
                                        ; implicit-def: $sgpr34_sgpr35
	s_waitcnt vmcnt(0)
	v_mul_lo_u32 v17, v9, s29
	s_branch .LBB11_23
.LBB11_15:                              ;   in Loop: Header=BB11_23 Depth=2
	s_or_b64 exec, exec, s[54:55]
	s_orn2_b64 s[50:51], s[50:51], exec
	s_orn2_b64 s[52:53], s[52:53], exec
.LBB11_16:                              ;   in Loop: Header=BB11_23 Depth=2
	s_or_b64 exec, exec, s[48:49]
	s_and_b64 s[50:51], s[50:51], exec
	s_orn2_b64 s[48:49], s[52:53], exec
.LBB11_17:                              ;   in Loop: Header=BB11_23 Depth=2
	s_or_b64 exec, exec, s[46:47]
	s_orn2_b64 s[50:51], s[50:51], exec
	s_orn2_b64 s[46:47], s[48:49], exec
.LBB11_18:                              ;   in Loop: Header=BB11_23 Depth=2
	s_or_b64 exec, exec, s[44:45]
	s_and_b64 s[48:49], s[50:51], exec
	s_orn2_b64 s[44:45], s[46:47], exec
.LBB11_19:                              ;   in Loop: Header=BB11_23 Depth=2
	s_or_b64 exec, exec, s[42:43]
	s_orn2_b64 s[42:43], s[48:49], exec
	s_orn2_b64 s[44:45], s[44:45], exec
.LBB11_20:                              ;   in Loop: Header=BB11_23 Depth=2
	s_or_b64 exec, exec, s[40:41]
	s_and_b64 s[42:43], s[42:43], exec
	s_orn2_b64 s[40:41], s[44:45], exec
.LBB11_21:                              ;   in Loop: Header=BB11_23 Depth=2
	s_or_b64 exec, exec, s[38:39]
	s_andn2_b64 s[34:35], s[34:35], exec
	s_and_b64 s[38:39], s[42:43], exec
	s_or_b64 s[34:35], s[34:35], s[38:39]
	s_andn2_b64 s[26:27], s[26:27], exec
	s_and_b64 s[38:39], s[40:41], exec
	s_or_b64 s[26:27], s[26:27], s[38:39]
.LBB11_22:                              ;   in Loop: Header=BB11_23 Depth=2
	s_or_b64 exec, exec, s[36:37]
	s_and_b64 s[36:37], exec, s[26:27]
	s_or_b64 s[24:25], s[36:37], s[24:25]
	s_andn2_b64 s[22:23], s[22:23], exec
	s_and_b64 s[36:37], s[34:35], exec
	s_or_b64 s[22:23], s[22:23], s[36:37]
	s_andn2_b64 exec, exec, s[24:25]
	s_cbranch_execz .LBB11_32
.LBB11_23:                              ;   Parent Loop BB11_14 Depth=1
                                        ; =>  This Inner Loop Header: Depth=2
	v_and_b32_e32 v16, 0x3ff, v17
	v_lshl_add_u32 v18, v16, 2, v15
	ds_read_b32 v19, v18
	s_or_b64 s[34:35], s[34:35], exec
	s_or_b64 s[26:27], s[26:27], exec
	s_waitcnt lgkmcnt(0)
	v_cmp_ne_u32_e32 vcc, v19, v9
	s_and_saveexec_b64 s[36:37], vcc
	s_cbranch_execz .LBB11_22
; %bb.24:                               ;   in Loop: Header=BB11_23 Depth=2
	ds_cmpst_rtn_b32 v18, v18, v10, v9
	s_mov_b64 s[40:41], -1
	s_mov_b64 s[42:43], 0
	s_waitcnt lgkmcnt(0)
	v_cmp_ne_u32_e32 vcc, -1, v18
	s_and_saveexec_b64 s[38:39], vcc
	s_cbranch_execz .LBB11_21
; %bb.25:                               ;   in Loop: Header=BB11_23 Depth=2
	v_add_u32_e32 v16, 1, v17
	v_and_b32_e32 v16, 0x3ff, v16
	v_lshl_add_u32 v18, v16, 2, v15
	ds_read_b32 v19, v18
	s_mov_b64 s[44:45], -1
	s_mov_b64 s[42:43], -1
	s_waitcnt lgkmcnt(0)
	v_cmp_ne_u32_e32 vcc, v19, v9
	s_and_saveexec_b64 s[40:41], vcc
	s_cbranch_execz .LBB11_20
; %bb.26:                               ;   in Loop: Header=BB11_23 Depth=2
	ds_cmpst_rtn_b32 v18, v18, v10, v9
	s_mov_b64 s[48:49], 0
	s_waitcnt lgkmcnt(0)
	v_cmp_ne_u32_e32 vcc, -1, v18
	s_and_saveexec_b64 s[42:43], vcc
	s_cbranch_execz .LBB11_19
; %bb.27:                               ;   in Loop: Header=BB11_23 Depth=2
	v_add_u32_e32 v16, 2, v17
	v_and_b32_e32 v16, 0x3ff, v16
	v_lshl_add_u32 v18, v16, 2, v15
	ds_read_b32 v19, v18
	s_mov_b64 s[46:47], -1
	s_mov_b64 s[50:51], -1
	s_waitcnt lgkmcnt(0)
	v_cmp_ne_u32_e32 vcc, v19, v9
	s_and_saveexec_b64 s[44:45], vcc
	s_cbranch_execz .LBB11_18
; %bb.28:                               ;   in Loop: Header=BB11_23 Depth=2
	ds_cmpst_rtn_b32 v18, v18, v10, v9
	s_mov_b64 s[48:49], -1
	s_mov_b64 s[50:51], 0
	s_waitcnt lgkmcnt(0)
	v_cmp_ne_u32_e32 vcc, -1, v18
	s_and_saveexec_b64 s[46:47], vcc
	s_cbranch_execz .LBB11_17
; %bb.29:                               ;   in Loop: Header=BB11_23 Depth=2
	v_add_u32_e32 v16, 3, v17
	v_and_b32_e32 v16, 0x3ff, v16
	v_lshl_add_u32 v18, v16, 2, v15
	ds_read_b32 v17, v18
	s_mov_b64 s[52:53], -1
	s_mov_b64 s[50:51], -1
	s_waitcnt lgkmcnt(0)
	v_cmp_ne_u32_e32 vcc, v17, v9
                                        ; implicit-def: $vgpr17
	s_and_saveexec_b64 s[48:49], vcc
	s_cbranch_execz .LBB11_16
; %bb.30:                               ;   in Loop: Header=BB11_23 Depth=2
	ds_cmpst_rtn_b32 v17, v18, v10, v9
	s_mov_b64 s[50:51], 0
	s_waitcnt lgkmcnt(0)
	v_cmp_ne_u32_e32 vcc, -1, v17
                                        ; implicit-def: $vgpr17
	s_and_saveexec_b64 s[54:55], vcc
	s_cbranch_execz .LBB11_15
; %bb.31:                               ;   in Loop: Header=BB11_23 Depth=2
	v_add_u32_e32 v11, -4, v11
	v_cmp_eq_u32_e32 vcc, 0, v11
	s_mov_b64 s[50:51], exec
	v_add_u32_e32 v17, 1, v16
	s_orn2_b64 s[52:53], vcc, exec
	s_branch .LBB11_15
.LBB11_32:                              ;   in Loop: Header=BB11_14 Depth=1
	s_or_b64 exec, exec, s[24:25]
	s_xor_b64 s[22:23], s[22:23], -1
	s_and_saveexec_b64 s[24:25], s[22:23]
	s_xor_b64 s[22:23], exec, s[24:25]
	s_cbranch_execz .LBB11_13
; %bb.33:                               ;   in Loop: Header=BB11_14 Depth=1
	v_lshl_add_u32 v9, v16, 2, v7
	ds_write_b32 v9, v8
	s_branch .LBB11_13
.LBB11_34:
	s_or_b64 exec, exec, s[2:3]
	s_waitcnt vmcnt(0)
	v_cmp_lt_i32_e32 vcc, v0, v6
	s_waitcnt lgkmcnt(0)
	s_and_saveexec_b64 s[2:3], vcc
	s_cbranch_execz .LBB11_64
; %bb.35:
	v_add_u32_e32 v16, 1, v12
	s_mov_b64 s[14:15], 0
	s_movk_i32 s29, 0x67
	s_branch .LBB11_38
.LBB11_36:                              ;   in Loop: Header=BB11_38 Depth=1
	s_or_b64 exec, exec, s[24:25]
	v_add_u32_e32 v0, 1, v0
	v_cmp_ge_i32_e32 vcc, v0, v6
	s_orn2_b64 s[24:25], vcc, exec
.LBB11_37:                              ;   in Loop: Header=BB11_38 Depth=1
	s_or_b64 exec, exec, s[22:23]
	s_and_b64 s[22:23], exec, s[24:25]
	s_or_b64 s[14:15], s[22:23], s[14:15]
	s_andn2_b64 exec, exec, s[14:15]
	s_cbranch_execz .LBB11_64
.LBB11_38:                              ; =>This Loop Header: Depth=1
                                        ;     Child Loop BB11_39 Depth 2
                                        ;     Child Loop BB11_44 Depth 2
                                        ;       Child Loop BB11_53 Depth 3
	v_ashrrev_i32_e32 v1, 31, v0
	v_lshlrev_b64 v[8:9], 2, v[0:1]
	v_lshl_add_u64 v[10:11], s[6:7], 0, v[8:9]
	global_load_dword v1, v[10:11], off
	v_lshl_add_u64 v[8:9], s[8:9], 0, v[8:9]
	global_load_dword v17, v[8:9], off
	s_mov_b64 s[22:23], 0
	s_waitcnt vmcnt(1)
	v_subrev_u32_e32 v10, s28, v1
	v_ashrrev_i32_e32 v11, 31, v10
	v_lshlrev_b64 v[10:11], 2, v[10:11]
	v_lshl_add_u64 v[20:21], s[4:5], 0, v[10:11]
	v_lshl_add_u64 v[22:23], s[10:11], 0, v[10:11]
	global_load_dword v1, v[20:21], off offset:4
	global_load_dword v18, v[22:23], off
	v_lshl_add_u64 v[10:11], s[12:13], 0, v[10:11]
.LBB11_39:                              ;   Parent Loop BB11_38 Depth=1
                                        ; =>  This Inner Loop Header: Depth=2
	global_load_dword v19, v[10:11], off sc1
	s_waitcnt vmcnt(0)
	v_cmp_ne_u32_e32 vcc, 0, v19
	s_or_b64 s[22:23], vcc, s[22:23]
	s_andn2_b64 exec, exec, s[22:23]
	s_cbranch_execnz .LBB11_39
; %bb.40:                               ;   in Loop: Header=BB11_38 Depth=1
	s_or_b64 exec, exec, s[22:23]
	v_subrev_u32_e32 v1, s28, v1
	v_add_u32_e32 v10, -1, v1
	v_cmp_eq_u32_e32 vcc, -1, v18
	buffer_inv sc1
	s_mov_b64 s[24:25], -1
	v_cndmask_b32_e32 v10, v18, v10, vcc
	v_ashrrev_i32_e32 v11, 31, v10
	v_lshl_add_u64 v[18:19], v[10:11], 2, s[8:9]
	global_load_dword v11, v[18:19], off
	s_waitcnt vmcnt(0)
	v_cmp_neq_f32_e32 vcc, 0, v11
	s_and_saveexec_b64 s[22:23], vcc
	s_cbranch_execz .LBB11_37
; %bb.41:                               ;   in Loop: Header=BB11_38 Depth=1
	v_div_scale_f32 v18, s[24:25], v11, v11, v17
	v_rcp_f32_e32 v19, v18
	v_div_scale_f32 v20, vcc, v17, v11, v17
	v_fma_f32 v21, -v18, v19, 1.0
	v_fmac_f32_e32 v19, v21, v19
	v_mul_f32_e32 v21, v20, v19
	v_fma_f32 v22, -v18, v21, v20
	v_fmac_f32_e32 v21, v22, v19
	v_fma_f32 v18, -v18, v21, v20
	v_div_fmas_f32 v18, v18, v19, v21
	v_div_fixup_f32 v11, v18, v11, v17
	global_store_dword v[8:9], v11, off
	v_add_u32_e32 v8, v16, v10
	v_cmp_lt_i32_e32 vcc, v8, v1
	s_and_saveexec_b64 s[24:25], vcc
	s_cbranch_execz .LBB11_36
; %bb.42:                               ;   in Loop: Header=BB11_38 Depth=1
	s_mov_b64 s[26:27], 0
	s_branch .LBB11_44
.LBB11_43:                              ;   in Loop: Header=BB11_44 Depth=2
	s_or_b64 exec, exec, s[34:35]
	v_add_u32_e32 v8, 64, v8
	v_cmp_ge_i32_e32 vcc, v8, v1
	s_or_b64 s[26:27], vcc, s[26:27]
	s_andn2_b64 exec, exec, s[26:27]
	s_cbranch_execz .LBB11_36
.LBB11_44:                              ;   Parent Loop BB11_38 Depth=1
                                        ; =>  This Loop Header: Depth=2
                                        ;       Child Loop BB11_53 Depth 3
	v_ashrrev_i32_e32 v9, 31, v8
	v_lshl_add_u64 v[18:19], v[8:9], 2, s[6:7]
	global_load_dword v10, v[18:19], off
	v_mov_b32_e32 v17, 0x400
	s_mov_b64 s[36:37], 0
                                        ; implicit-def: $sgpr34_sgpr35
                                        ; implicit-def: $sgpr38_sgpr39
                                        ; implicit-def: $sgpr40_sgpr41
	s_waitcnt vmcnt(0)
	v_mul_lo_u32 v19, v10, s29
	s_branch .LBB11_53
.LBB11_45:                              ;   in Loop: Header=BB11_53 Depth=3
	s_or_b64 exec, exec, s[60:61]
	s_orn2_b64 s[56:57], s[56:57], exec
	s_orn2_b64 s[58:59], s[58:59], exec
.LBB11_46:                              ;   in Loop: Header=BB11_53 Depth=3
	s_or_b64 exec, exec, s[54:55]
	s_and_b64 s[56:57], s[56:57], exec
	s_orn2_b64 s[54:55], s[58:59], exec
.LBB11_47:                              ;   in Loop: Header=BB11_53 Depth=3
	s_or_b64 exec, exec, s[52:53]
	s_orn2_b64 s[56:57], s[56:57], exec
	s_orn2_b64 s[52:53], s[54:55], exec
.LBB11_48:                              ;   in Loop: Header=BB11_53 Depth=3
	s_or_b64 exec, exec, s[50:51]
	s_and_b64 s[54:55], s[56:57], exec
	s_orn2_b64 s[50:51], s[52:53], exec
.LBB11_49:                              ;   in Loop: Header=BB11_53 Depth=3
	s_or_b64 exec, exec, s[48:49]
	s_orn2_b64 s[48:49], s[54:55], exec
	s_orn2_b64 s[50:51], s[50:51], exec
.LBB11_50:                              ;   in Loop: Header=BB11_53 Depth=3
	s_or_b64 exec, exec, s[46:47]
	s_and_b64 s[48:49], s[48:49], exec
	s_orn2_b64 s[46:47], s[50:51], exec
.LBB11_51:                              ;   in Loop: Header=BB11_53 Depth=3
	s_or_b64 exec, exec, s[44:45]
	s_andn2_b64 s[40:41], s[40:41], exec
	s_and_b64 s[44:45], s[48:49], exec
	s_or_b64 s[40:41], s[40:41], s[44:45]
	s_andn2_b64 s[38:39], s[38:39], exec
	s_and_b64 s[44:45], s[46:47], exec
	s_or_b64 s[38:39], s[38:39], s[44:45]
.LBB11_52:                              ;   in Loop: Header=BB11_53 Depth=3
	s_or_b64 exec, exec, s[42:43]
	s_and_b64 s[42:43], exec, s[38:39]
	s_or_b64 s[36:37], s[42:43], s[36:37]
	s_andn2_b64 s[34:35], s[34:35], exec
	s_and_b64 s[42:43], s[40:41], exec
	s_or_b64 s[34:35], s[34:35], s[42:43]
	s_andn2_b64 exec, exec, s[36:37]
	s_cbranch_execz .LBB11_62
.LBB11_53:                              ;   Parent Loop BB11_38 Depth=1
                                        ;     Parent Loop BB11_44 Depth=2
                                        ; =>    This Inner Loop Header: Depth=3
	v_and_b32_e32 v18, 0x3ff, v19
	v_lshl_add_u32 v20, v18, 2, v15
	ds_read_b32 v20, v20
	s_or_b64 s[40:41], s[40:41], exec
	s_or_b64 s[38:39], s[38:39], exec
	s_waitcnt lgkmcnt(0)
	v_cmp_ne_u32_e32 vcc, -1, v20
	s_and_saveexec_b64 s[42:43], vcc
	s_cbranch_execz .LBB11_52
; %bb.54:                               ;   in Loop: Header=BB11_53 Depth=3
	v_cmp_ne_u32_e32 vcc, v20, v10
	s_mov_b64 s[46:47], -1
	s_mov_b64 s[48:49], 0
	s_and_saveexec_b64 s[44:45], vcc
	s_cbranch_execz .LBB11_51
; %bb.55:                               ;   in Loop: Header=BB11_53 Depth=3
	v_add_u32_e32 v18, 1, v19
	v_and_b32_e32 v18, 0x3ff, v18
	v_lshl_add_u32 v20, v18, 2, v15
	ds_read_b32 v20, v20
	s_mov_b64 s[50:51], -1
	s_mov_b64 s[48:49], -1
	s_waitcnt lgkmcnt(0)
	v_cmp_ne_u32_e32 vcc, -1, v20
	s_and_saveexec_b64 s[46:47], vcc
	s_cbranch_execz .LBB11_50
; %bb.56:                               ;   in Loop: Header=BB11_53 Depth=3
	v_cmp_ne_u32_e32 vcc, v20, v10
	s_mov_b64 s[54:55], 0
	s_and_saveexec_b64 s[48:49], vcc
	s_cbranch_execz .LBB11_49
; %bb.57:                               ;   in Loop: Header=BB11_53 Depth=3
	v_add_u32_e32 v18, 2, v19
	v_and_b32_e32 v18, 0x3ff, v18
	v_lshl_add_u32 v20, v18, 2, v15
	ds_read_b32 v20, v20
	s_mov_b64 s[52:53], -1
	s_mov_b64 s[56:57], -1
	s_waitcnt lgkmcnt(0)
	v_cmp_ne_u32_e32 vcc, -1, v20
	s_and_saveexec_b64 s[50:51], vcc
	s_cbranch_execz .LBB11_48
; %bb.58:                               ;   in Loop: Header=BB11_53 Depth=3
	v_cmp_ne_u32_e32 vcc, v20, v10
	s_mov_b64 s[54:55], -1
	s_mov_b64 s[56:57], 0
	s_and_saveexec_b64 s[52:53], vcc
	s_cbranch_execz .LBB11_47
; %bb.59:                               ;   in Loop: Header=BB11_53 Depth=3
	v_add_u32_e32 v18, 3, v19
	v_and_b32_e32 v18, 0x3ff, v18
	v_lshl_add_u32 v19, v18, 2, v15
	ds_read_b32 v20, v19
	s_mov_b64 s[58:59], -1
	s_mov_b64 s[56:57], -1
                                        ; implicit-def: $vgpr19
	s_waitcnt lgkmcnt(0)
	v_cmp_ne_u32_e32 vcc, -1, v20
	s_and_saveexec_b64 s[54:55], vcc
	s_cbranch_execz .LBB11_46
; %bb.60:                               ;   in Loop: Header=BB11_53 Depth=3
	v_cmp_ne_u32_e32 vcc, v20, v10
	s_mov_b64 s[56:57], 0
                                        ; implicit-def: $vgpr19
	s_and_saveexec_b64 s[60:61], vcc
	s_cbranch_execz .LBB11_45
; %bb.61:                               ;   in Loop: Header=BB11_53 Depth=3
	v_add_u32_e32 v17, -4, v17
	v_cmp_eq_u32_e32 vcc, 0, v17
	s_mov_b64 s[56:57], exec
	v_add_u32_e32 v19, 1, v18
	s_orn2_b64 s[58:59], vcc, exec
	s_branch .LBB11_45
.LBB11_62:                              ;   in Loop: Header=BB11_44 Depth=2
	s_or_b64 exec, exec, s[36:37]
	s_xor_b64 s[34:35], s[34:35], -1
	s_and_saveexec_b64 s[36:37], s[34:35]
	s_xor_b64 s[34:35], exec, s[36:37]
	s_cbranch_execz .LBB11_43
; %bb.63:                               ;   in Loop: Header=BB11_44 Depth=2
	v_lshl_add_u32 v10, v18, 2, v7
	ds_read_b32 v18, v10
	v_lshl_add_u64 v[20:21], v[8:9], 2, s[8:9]
	s_waitcnt lgkmcnt(0)
	v_ashrrev_i32_e32 v19, 31, v18
	v_lshl_add_u64 v[18:19], v[18:19], 2, s[8:9]
	global_load_dword v9, v[20:21], off
	global_load_dword v10, v[18:19], off
	s_waitcnt vmcnt(0)
	v_fma_f32 v9, -v11, v9, v10
	global_store_dword v[18:19], v9, off
	s_branch .LBB11_43
.LBB11_64:
	s_or_b64 exec, exec, s[2:3]
	v_cmp_lt_i32_e32 vcc, -1, v6
	s_and_saveexec_b64 s[6:7], vcc
	s_cbranch_execz .LBB11_80
; %bb.65:
	v_mov_b32_e32 v7, 0
	v_lshl_add_u64 v[6:7], v[6:7], 2, s[8:9]
	global_load_dword v8, v[6:7], off
	v_cmp_eq_u32_e64 s[2:3], 0, v12
	s_andn2_b64 vcc, exec, s[30:31]
	s_waitcnt vmcnt(0)
	v_cmp_gt_f32_e64 s[4:5], 0, v8
	s_nop 1
	v_cndmask_b32_e64 v0, v8, -v8, s[4:5]
	v_cvt_f64_f32_e32 v[0:1], v0
	s_mov_b64 s[4:5], -1
	s_cbranch_vccnz .LBB11_69
; %bb.66:
	s_cmp_eq_u64 s[20:21], 8
	v_cvt_f64_f32_e32 v[10:11], v13
	s_cselect_b64 vcc, -1, 0
	v_cndmask_b32_e32 v5, v11, v5, vcc
	v_cndmask_b32_e32 v4, v10, v4, vcc
	v_cmp_ge_f64_e32 vcc, v[4:5], v[0:1]
	s_and_b64 s[8:9], s[2:3], vcc
	s_and_saveexec_b64 s[4:5], s[8:9]
	s_cbranch_execz .LBB11_68
; %bb.67:
	global_store_dword v[6:7], v14, off
	buffer_wbl2 sc1
	s_waitcnt vmcnt(0)
	buffer_inv sc1
.LBB11_68:
	s_or_b64 exec, exec, s[4:5]
	s_mov_b64 s[4:5], 0
.LBB11_69:
	s_andn2_b64 vcc, exec, s[4:5]
	s_cbranch_vccnz .LBB11_80
; %bb.70:
	s_load_dwordx2 s[0:1], s[0:1], 0x48
	s_waitcnt lgkmcnt(0)
	v_cmp_ge_f64_e32 vcc, s[0:1], v[0:1]
	s_and_b64 s[4:5], s[2:3], vcc
	v_add_u32_e32 v0, s28, v2
	s_and_saveexec_b64 s[0:1], s[4:5]
	s_cbranch_execz .LBB11_75
; %bb.71:
	s_mov_b64 s[4:5], exec
	s_brev_b32 s8, -2
.LBB11_72:                              ; =>This Inner Loop Header: Depth=1
	s_ff1_i32_b64 s9, s[4:5]
	v_readlane_b32 s14, v0, s9
	s_lshl_b64 s[10:11], 1, s9
	s_min_i32 s8, s8, s14
	s_andn2_b64 s[4:5], s[4:5], s[10:11]
	s_cmp_lg_u64 s[4:5], 0
	s_cbranch_scc1 .LBB11_72
; %bb.73:
	v_mbcnt_lo_u32_b32 v1, exec_lo, 0
	v_mbcnt_hi_u32_b32 v1, exec_hi, v1
	v_cmp_eq_u32_e32 vcc, 0, v1
	s_and_saveexec_b64 s[4:5], vcc
	s_xor_b64 s[4:5], exec, s[4:5]
	s_cbranch_execz .LBB11_75
; %bb.74:
	v_mov_b32_e32 v1, 0
	v_mov_b32_e32 v4, s8
	global_atomic_smin v1, v4, s[18:19]
.LBB11_75:
	s_or_b64 exec, exec, s[0:1]
	v_cmp_eq_f32_e32 vcc, 0, v8
	s_and_b64 s[0:1], s[2:3], vcc
	s_and_b64 exec, exec, s[0:1]
	s_cbranch_execz .LBB11_80
; %bb.76:
	s_mov_b64 s[0:1], exec
	s_brev_b32 s2, -2
.LBB11_77:                              ; =>This Inner Loop Header: Depth=1
	s_ff1_i32_b64 s3, s[0:1]
	v_readlane_b32 s8, v0, s3
	s_lshl_b64 s[4:5], 1, s3
	s_min_i32 s2, s2, s8
	s_andn2_b64 s[0:1], s[0:1], s[4:5]
	s_cmp_lg_u64 s[0:1], 0
	s_cbranch_scc1 .LBB11_77
; %bb.78:
	v_mbcnt_lo_u32_b32 v0, exec_lo, 0
	v_mbcnt_hi_u32_b32 v0, exec_hi, v0
	v_cmp_eq_u32_e32 vcc, 0, v0
	s_and_saveexec_b64 s[0:1], vcc
	s_xor_b64 s[0:1], exec, s[0:1]
	s_cbranch_execz .LBB11_80
; %bb.79:
	v_mov_b32_e32 v0, 0
	v_mov_b32_e32 v1, s2
	global_atomic_smin v0, v1, s[16:17]
.LBB11_80:
	s_or_b64 exec, exec, s[6:7]
	v_cmp_eq_u32_e32 vcc, 0, v12
	buffer_wbl2 sc1
	s_waitcnt vmcnt(0)
	buffer_inv sc1
	s_and_b64 exec, exec, vcc
	s_cbranch_execz .LBB11_82
; %bb.81:
	v_lshl_add_u64 v[0:1], v[2:3], 2, s[12:13]
	v_mov_b32_e32 v2, 1
	buffer_wbl2 sc1
	global_store_dword v[0:1], v2, off sc1
.LBB11_82:
	s_endpgm
	.section	.rodata,"a",@progbits
	.p2align	6, 0x0
	.amdhsa_kernel _ZN9rocsparseL12csrilu0_hashILj256ELj64ELj16EfEEviPKiS2_PT2_S2_PiS2_S5_S5_d21rocsparse_index_base_imNS_24const_host_device_scalarIfEENS7_IdEENS7_IS3_EEb
		.amdhsa_group_segment_fixed_size 32768
		.amdhsa_private_segment_fixed_size 0
		.amdhsa_kernarg_size 124
		.amdhsa_user_sgpr_count 2
		.amdhsa_user_sgpr_dispatch_ptr 0
		.amdhsa_user_sgpr_queue_ptr 0
		.amdhsa_user_sgpr_kernarg_segment_ptr 1
		.amdhsa_user_sgpr_dispatch_id 0
		.amdhsa_user_sgpr_kernarg_preload_length 0
		.amdhsa_user_sgpr_kernarg_preload_offset 0
		.amdhsa_user_sgpr_private_segment_size 0
		.amdhsa_uses_dynamic_stack 0
		.amdhsa_enable_private_segment 0
		.amdhsa_system_sgpr_workgroup_id_x 1
		.amdhsa_system_sgpr_workgroup_id_y 0
		.amdhsa_system_sgpr_workgroup_id_z 0
		.amdhsa_system_sgpr_workgroup_info 0
		.amdhsa_system_vgpr_workitem_id 0
		.amdhsa_next_free_vgpr 81
		.amdhsa_next_free_sgpr 96
		.amdhsa_accum_offset 24
		.amdhsa_reserve_vcc 1
		.amdhsa_float_round_mode_32 0
		.amdhsa_float_round_mode_16_64 0
		.amdhsa_float_denorm_mode_32 3
		.amdhsa_float_denorm_mode_16_64 3
		.amdhsa_dx10_clamp 1
		.amdhsa_ieee_mode 1
		.amdhsa_fp16_overflow 0
		.amdhsa_tg_split 0
		.amdhsa_exception_fp_ieee_invalid_op 0
		.amdhsa_exception_fp_denorm_src 0
		.amdhsa_exception_fp_ieee_div_zero 0
		.amdhsa_exception_fp_ieee_overflow 0
		.amdhsa_exception_fp_ieee_underflow 0
		.amdhsa_exception_fp_ieee_inexact 0
		.amdhsa_exception_int_div_zero 0
	.end_amdhsa_kernel
	.section	.text._ZN9rocsparseL12csrilu0_hashILj256ELj64ELj16EfEEviPKiS2_PT2_S2_PiS2_S5_S5_d21rocsparse_index_base_imNS_24const_host_device_scalarIfEENS7_IdEENS7_IS3_EEb,"axG",@progbits,_ZN9rocsparseL12csrilu0_hashILj256ELj64ELj16EfEEviPKiS2_PT2_S2_PiS2_S5_S5_d21rocsparse_index_base_imNS_24const_host_device_scalarIfEENS7_IdEENS7_IS3_EEb,comdat
.Lfunc_end11:
	.size	_ZN9rocsparseL12csrilu0_hashILj256ELj64ELj16EfEEviPKiS2_PT2_S2_PiS2_S5_S5_d21rocsparse_index_base_imNS_24const_host_device_scalarIfEENS7_IdEENS7_IS3_EEb, .Lfunc_end11-_ZN9rocsparseL12csrilu0_hashILj256ELj64ELj16EfEEviPKiS2_PT2_S2_PiS2_S5_S5_d21rocsparse_index_base_imNS_24const_host_device_scalarIfEENS7_IdEENS7_IS3_EEb
                                        ; -- End function
	.set _ZN9rocsparseL12csrilu0_hashILj256ELj64ELj16EfEEviPKiS2_PT2_S2_PiS2_S5_S5_d21rocsparse_index_base_imNS_24const_host_device_scalarIfEENS7_IdEENS7_IS3_EEb.num_vgpr, 24
	.set _ZN9rocsparseL12csrilu0_hashILj256ELj64ELj16EfEEviPKiS2_PT2_S2_PiS2_S5_S5_d21rocsparse_index_base_imNS_24const_host_device_scalarIfEENS7_IdEENS7_IS3_EEb.num_agpr, 0
	.set _ZN9rocsparseL12csrilu0_hashILj256ELj64ELj16EfEEviPKiS2_PT2_S2_PiS2_S5_S5_d21rocsparse_index_base_imNS_24const_host_device_scalarIfEENS7_IdEENS7_IS3_EEb.numbered_sgpr, 62
	.set _ZN9rocsparseL12csrilu0_hashILj256ELj64ELj16EfEEviPKiS2_PT2_S2_PiS2_S5_S5_d21rocsparse_index_base_imNS_24const_host_device_scalarIfEENS7_IdEENS7_IS3_EEb.num_named_barrier, 0
	.set _ZN9rocsparseL12csrilu0_hashILj256ELj64ELj16EfEEviPKiS2_PT2_S2_PiS2_S5_S5_d21rocsparse_index_base_imNS_24const_host_device_scalarIfEENS7_IdEENS7_IS3_EEb.private_seg_size, 0
	.set _ZN9rocsparseL12csrilu0_hashILj256ELj64ELj16EfEEviPKiS2_PT2_S2_PiS2_S5_S5_d21rocsparse_index_base_imNS_24const_host_device_scalarIfEENS7_IdEENS7_IS3_EEb.uses_vcc, 1
	.set _ZN9rocsparseL12csrilu0_hashILj256ELj64ELj16EfEEviPKiS2_PT2_S2_PiS2_S5_S5_d21rocsparse_index_base_imNS_24const_host_device_scalarIfEENS7_IdEENS7_IS3_EEb.uses_flat_scratch, 0
	.set _ZN9rocsparseL12csrilu0_hashILj256ELj64ELj16EfEEviPKiS2_PT2_S2_PiS2_S5_S5_d21rocsparse_index_base_imNS_24const_host_device_scalarIfEENS7_IdEENS7_IS3_EEb.has_dyn_sized_stack, 0
	.set _ZN9rocsparseL12csrilu0_hashILj256ELj64ELj16EfEEviPKiS2_PT2_S2_PiS2_S5_S5_d21rocsparse_index_base_imNS_24const_host_device_scalarIfEENS7_IdEENS7_IS3_EEb.has_recursion, 0
	.set _ZN9rocsparseL12csrilu0_hashILj256ELj64ELj16EfEEviPKiS2_PT2_S2_PiS2_S5_S5_d21rocsparse_index_base_imNS_24const_host_device_scalarIfEENS7_IdEENS7_IS3_EEb.has_indirect_call, 0
	.section	.AMDGPU.csdata,"",@progbits
; Kernel info:
; codeLenInByte = 2500
; TotalNumSgprs: 68
; NumVgprs: 24
; NumAgprs: 0
; TotalNumVgprs: 24
; ScratchSize: 0
; MemoryBound: 0
; FloatMode: 240
; IeeeMode: 1
; LDSByteSize: 32768 bytes/workgroup (compile time only)
; SGPRBlocks: 12
; VGPRBlocks: 10
; NumSGPRsForWavesPerEU: 102
; NumVGPRsForWavesPerEU: 81
; AccumOffset: 24
; Occupancy: 5
; WaveLimiterHint : 1
; COMPUTE_PGM_RSRC2:SCRATCH_EN: 0
; COMPUTE_PGM_RSRC2:USER_SGPR: 2
; COMPUTE_PGM_RSRC2:TRAP_HANDLER: 0
; COMPUTE_PGM_RSRC2:TGID_X_EN: 1
; COMPUTE_PGM_RSRC2:TGID_Y_EN: 0
; COMPUTE_PGM_RSRC2:TGID_Z_EN: 0
; COMPUTE_PGM_RSRC2:TIDIG_COMP_CNT: 0
; COMPUTE_PGM_RSRC3_GFX90A:ACCUM_OFFSET: 5
; COMPUTE_PGM_RSRC3_GFX90A:TG_SPLIT: 0
	.section	.text._ZN9rocsparseL17csrilu0_binsearchILj256ELj64ELb0EfEEviPKiS2_PT2_S2_PiS2_S5_S5_d21rocsparse_index_base_imNS_24const_host_device_scalarIfEENS7_IdEENS7_IS3_EEb,"axG",@progbits,_ZN9rocsparseL17csrilu0_binsearchILj256ELj64ELb0EfEEviPKiS2_PT2_S2_PiS2_S5_S5_d21rocsparse_index_base_imNS_24const_host_device_scalarIfEENS7_IdEENS7_IS3_EEb,comdat
	.globl	_ZN9rocsparseL17csrilu0_binsearchILj256ELj64ELb0EfEEviPKiS2_PT2_S2_PiS2_S5_S5_d21rocsparse_index_base_imNS_24const_host_device_scalarIfEENS7_IdEENS7_IS3_EEb ; -- Begin function _ZN9rocsparseL17csrilu0_binsearchILj256ELj64ELb0EfEEviPKiS2_PT2_S2_PiS2_S5_S5_d21rocsparse_index_base_imNS_24const_host_device_scalarIfEENS7_IdEENS7_IS3_EEb
	.p2align	8
	.type	_ZN9rocsparseL17csrilu0_binsearchILj256ELj64ELb0EfEEviPKiS2_PT2_S2_PiS2_S5_S5_d21rocsparse_index_base_imNS_24const_host_device_scalarIfEENS7_IdEENS7_IS3_EEb,@function
_ZN9rocsparseL17csrilu0_binsearchILj256ELj64ELb0EfEEviPKiS2_PT2_S2_PiS2_S5_S5_d21rocsparse_index_base_imNS_24const_host_device_scalarIfEENS7_IdEENS7_IS3_EEb: ; @_ZN9rocsparseL17csrilu0_binsearchILj256ELj64ELb0EfEEviPKiS2_PT2_S2_PiS2_S5_S5_d21rocsparse_index_base_imNS_24const_host_device_scalarIfEENS7_IdEENS7_IS3_EEb
; %bb.0:
	s_load_dword s3, s[0:1], 0x78
	s_load_dwordx2 s[28:29], s[0:1], 0x50
	s_load_dwordx8 s[20:27], s[0:1], 0x58
	s_waitcnt lgkmcnt(0)
	s_bitcmp1_b32 s3, 0
	s_cselect_b64 s[4:5], -1, 0
	s_cmp_eq_u32 s29, 0
	s_cselect_b64 s[6:7], -1, 0
	s_cmp_lg_u32 s29, 0
	s_cselect_b64 s[30:31], -1, 0
	s_or_b64 s[4:5], s[6:7], s[4:5]
	s_xor_b64 s[8:9], s[4:5], -1
	s_and_b64 s[10:11], s[6:7], exec
	s_cselect_b32 s11, 0, s25
	s_cselect_b32 s10, 0, s24
	s_and_b64 vcc, exec, s[4:5]
	s_cbranch_vccnz .LBB12_2
; %bb.1:
	s_load_dword s3, s[22:23], 0x0
	s_mov_b64 s[10:11], s[24:25]
	s_waitcnt lgkmcnt(0)
	v_mov_b32_e32 v15, s3
	s_branch .LBB12_3
.LBB12_2:
	v_mov_b32_e32 v1, s22
	v_cndmask_b32_e64 v15, v1, 0, s[6:7]
.LBB12_3:
	v_cndmask_b32_e64 v1, 0, 1, s[8:9]
	v_cmp_ne_u32_e64 s[4:5], 1, v1
	s_andn2_b64 vcc, exec, s[8:9]
	v_mov_b64_e32 v[4:5], s[10:11]
	s_cbranch_vccnz .LBB12_5
; %bb.4:
	v_mov_b64_e32 v[2:3], s[24:25]
	flat_load_dwordx2 v[4:5], v[2:3]
.LBB12_5:
	s_and_b64 vcc, exec, s[4:5]
	s_cbranch_vccnz .LBB12_7
; %bb.6:
	s_load_dword s3, s[26:27], 0x0
	s_waitcnt lgkmcnt(0)
	v_mov_b32_e32 v16, s3
	s_branch .LBB12_8
.LBB12_7:
	v_mov_b32_e32 v1, s26
	v_cndmask_b32_e64 v16, v1, 0, s[6:7]
.LBB12_8:
	s_load_dword s3, s[0:1], 0x0
	s_lshl_b32 s2, s2, 2
	v_lshrrev_b32_e32 v1, 6, v0
	s_and_b32 s2, s2, 0x3fffffc
	v_or_b32_e32 v1, s2, v1
	s_waitcnt lgkmcnt(0)
	v_cmp_gt_i32_e32 vcc, s3, v1
	s_and_saveexec_b64 s[2:3], vcc
	s_cbranch_execz .LBB12_44
; %bb.9:
	s_load_dwordx16 s[4:19], s[0:1], 0x8
	v_lshlrev_b32_e32 v1, 2, v1
	v_and_b32_e32 v14, 63, v0
	s_waitcnt lgkmcnt(0)
	global_load_dword v2, v1, s[14:15]
	s_waitcnt vmcnt(0)
	v_ashrrev_i32_e32 v3, 31, v2
	v_lshlrev_b64 v[6:7], 2, v[2:3]
	v_lshl_add_u64 v[8:9], s[4:5], 0, v[6:7]
	v_lshl_add_u64 v[10:11], s[10:11], 0, v[6:7]
	global_load_dword v1, v[8:9], off
	global_load_dword v6, v[10:11], off
	s_waitcnt vmcnt(1)
	v_subrev_u32_e32 v0, s28, v1
	s_waitcnt vmcnt(0)
	v_cmp_lt_i32_e32 vcc, v0, v6
	s_and_saveexec_b64 s[2:3], vcc
	s_cbranch_execz .LBB12_26
; %bb.10:
	global_load_dword v1, v[8:9], off offset:4
	v_add_u32_e32 v7, 1, v14
	s_mov_b64 s[14:15], 0
	s_waitcnt vmcnt(0)
	v_xad_u32 v17, s28, -1, v1
	s_branch .LBB12_13
.LBB12_11:                              ;   in Loop: Header=BB12_13 Depth=1
	s_or_b64 exec, exec, s[24:25]
	v_cmp_ge_i32_e32 vcc, v0, v6
	s_orn2_b64 s[24:25], vcc, exec
.LBB12_12:                              ;   in Loop: Header=BB12_13 Depth=1
	s_or_b64 exec, exec, s[22:23]
	s_and_b64 s[22:23], exec, s[24:25]
	s_or_b64 s[14:15], s[22:23], s[14:15]
	s_andn2_b64 exec, exec, s[14:15]
	s_cbranch_execz .LBB12_26
.LBB12_13:                              ; =>This Loop Header: Depth=1
                                        ;     Child Loop BB12_15 Depth 2
                                        ;     Child Loop BB12_20 Depth 2
                                        ;       Child Loop BB12_22 Depth 3
	v_ashrrev_i32_e32 v1, 31, v0
	v_lshlrev_b64 v[8:9], 2, v[0:1]
	v_lshl_add_u64 v[10:11], s[6:7], 0, v[8:9]
	global_load_dword v1, v[10:11], off
	v_lshl_add_u64 v[8:9], s[8:9], 0, v[8:9]
	global_load_dword v12, v[8:9], off
	s_waitcnt vmcnt(1)
	v_subrev_u32_e32 v10, s28, v1
	v_ashrrev_i32_e32 v11, 31, v10
	v_lshlrev_b64 v[10:11], 2, v[10:11]
	v_lshl_add_u64 v[18:19], s[4:5], 0, v[10:11]
	v_lshl_add_u64 v[20:21], s[10:11], 0, v[10:11]
	;; [unrolled: 1-line block ×3, first 2 shown]
	global_load_dword v1, v[18:19], off offset:4
	global_load_dword v13, v[20:21], off
	global_load_dword v22, v[10:11], off sc1
	s_waitcnt vmcnt(0)
	v_cmp_eq_u32_e32 vcc, 0, v22
	s_and_saveexec_b64 s[22:23], vcc
	s_cbranch_execz .LBB12_16
; %bb.14:                               ;   in Loop: Header=BB12_13 Depth=1
	s_mov_b64 s[24:25], 0
.LBB12_15:                              ;   Parent Loop BB12_13 Depth=1
                                        ; =>  This Inner Loop Header: Depth=2
	global_load_dword v18, v[10:11], off sc1
	s_waitcnt vmcnt(0)
	v_cmp_ne_u32_e32 vcc, 0, v18
	s_or_b64 s[24:25], vcc, s[24:25]
	s_andn2_b64 exec, exec, s[24:25]
	s_cbranch_execnz .LBB12_15
.LBB12_16:                              ;   in Loop: Header=BB12_13 Depth=1
	s_or_b64 exec, exec, s[22:23]
	v_subrev_u32_e32 v1, s28, v1
	v_add_u32_e32 v10, -1, v1
	v_cmp_eq_u32_e32 vcc, -1, v13
	buffer_inv sc1
	s_mov_b64 s[24:25], -1
	v_cndmask_b32_e32 v10, v13, v10, vcc
	v_ashrrev_i32_e32 v11, 31, v10
	v_lshl_add_u64 v[18:19], v[10:11], 2, s[8:9]
	global_load_dword v11, v[18:19], off
	s_waitcnt vmcnt(0)
	v_cmp_neq_f32_e32 vcc, 0, v11
	s_and_saveexec_b64 s[22:23], vcc
	s_xor_b64 s[22:23], exec, s[22:23]
	s_cbranch_execz .LBB12_12
; %bb.17:                               ;   in Loop: Header=BB12_13 Depth=1
	v_div_scale_f32 v13, s[24:25], v11, v11, v12
	v_rcp_f32_e32 v18, v13
	v_div_scale_f32 v19, vcc, v12, v11, v12
	v_add_u32_e32 v0, 1, v0
	v_fma_f32 v20, -v13, v18, 1.0
	v_fmac_f32_e32 v18, v20, v18
	v_mul_f32_e32 v20, v19, v18
	v_fma_f32 v21, -v13, v20, v19
	v_fmac_f32_e32 v20, v21, v18
	v_fma_f32 v13, -v13, v20, v19
	v_div_fmas_f32 v13, v13, v18, v20
	v_div_fixup_f32 v18, v13, v11, v12
	global_store_dword v[8:9], v18, off
	v_add_u32_e32 v8, v7, v10
	v_cmp_lt_i32_e32 vcc, v8, v1
	s_and_saveexec_b64 s[24:25], vcc
	s_cbranch_execz .LBB12_11
; %bb.18:                               ;   in Loop: Header=BB12_13 Depth=1
	s_mov_b64 s[26:27], 0
	v_mov_b32_e32 v10, v0
	s_branch .LBB12_20
.LBB12_19:                              ;   in Loop: Header=BB12_20 Depth=2
	s_or_b64 exec, exec, s[34:35]
	v_add_u32_e32 v8, 64, v8
	v_cmp_ge_i32_e32 vcc, v8, v1
	s_or_b64 s[26:27], vcc, s[26:27]
	s_andn2_b64 exec, exec, s[26:27]
	s_cbranch_execz .LBB12_11
.LBB12_20:                              ;   Parent Loop BB12_13 Depth=1
                                        ; =>  This Loop Header: Depth=2
                                        ;       Child Loop BB12_22 Depth 3
	v_add_u32_e32 v11, v10, v17
	v_ashrrev_i32_e32 v9, 31, v8
	v_ashrrev_i32_e32 v12, 1, v11
	v_lshl_add_u64 v[20:21], v[8:9], 2, s[6:7]
	v_ashrrev_i32_e32 v13, 31, v12
	v_lshl_add_u64 v[22:23], v[12:13], 2, s[6:7]
	global_load_dword v11, v[20:21], off
	global_load_dword v13, v[22:23], off
	v_cmp_lt_i32_e32 vcc, v10, v17
	s_and_saveexec_b64 s[34:35], vcc
	s_cbranch_execz .LBB12_24
; %bb.21:                               ;   in Loop: Header=BB12_20 Depth=2
	s_mov_b64 s[36:37], 0
	v_mov_b32_e32 v19, v17
.LBB12_22:                              ;   Parent Loop BB12_13 Depth=1
                                        ;     Parent Loop BB12_20 Depth=2
                                        ; =>    This Inner Loop Header: Depth=3
	v_add_u32_e32 v20, 1, v12
	s_waitcnt vmcnt(0)
	v_cmp_lt_i32_e32 vcc, v13, v11
	s_nop 1
	v_cndmask_b32_e32 v19, v12, v19, vcc
	v_cndmask_b32_e32 v10, v10, v20, vcc
	v_add_u32_e32 v12, v19, v10
	v_ashrrev_i32_e32 v12, 1, v12
	v_ashrrev_i32_e32 v13, 31, v12
	v_lshl_add_u64 v[20:21], v[12:13], 2, s[6:7]
	global_load_dword v13, v[20:21], off
	v_cmp_ge_i32_e32 vcc, v10, v19
	s_or_b64 s[36:37], vcc, s[36:37]
	s_andn2_b64 exec, exec, s[36:37]
	s_cbranch_execnz .LBB12_22
; %bb.23:                               ;   in Loop: Header=BB12_20 Depth=2
	s_or_b64 exec, exec, s[36:37]
.LBB12_24:                              ;   in Loop: Header=BB12_20 Depth=2
	s_or_b64 exec, exec, s[34:35]
	s_waitcnt vmcnt(0)
	v_cmp_eq_u32_e32 vcc, v13, v11
	s_and_saveexec_b64 s[34:35], vcc
	s_cbranch_execz .LBB12_19
; %bb.25:                               ;   in Loop: Header=BB12_20 Depth=2
	v_lshl_add_u64 v[12:13], v[8:9], 2, s[8:9]
	v_ashrrev_i32_e32 v11, 31, v10
	v_lshl_add_u64 v[20:21], v[10:11], 2, s[8:9]
	global_load_dword v9, v[12:13], off
	global_load_dword v11, v[20:21], off
	s_waitcnt vmcnt(0)
	v_fma_f32 v9, -v18, v9, v11
	global_store_dword v[20:21], v9, off
	s_branch .LBB12_19
.LBB12_26:
	s_or_b64 exec, exec, s[2:3]
	v_cmp_lt_i32_e32 vcc, -1, v6
	s_and_saveexec_b64 s[6:7], vcc
	s_cbranch_execz .LBB12_42
; %bb.27:
	v_mov_b32_e32 v7, 0
	v_lshl_add_u64 v[6:7], v[6:7], 2, s[8:9]
	global_load_dword v8, v[6:7], off
	v_cmp_eq_u32_e64 s[2:3], 0, v14
	s_andn2_b64 vcc, exec, s[30:31]
	s_waitcnt vmcnt(0)
	v_cmp_gt_f32_e64 s[4:5], 0, v8
	s_nop 1
	v_cndmask_b32_e64 v0, v8, -v8, s[4:5]
	v_cvt_f64_f32_e32 v[0:1], v0
	s_mov_b64 s[4:5], -1
	s_cbranch_vccnz .LBB12_31
; %bb.28:
	s_cmp_eq_u64 s[20:21], 8
	v_cvt_f64_f32_e32 v[10:11], v15
	s_cselect_b64 vcc, -1, 0
	v_cndmask_b32_e32 v5, v11, v5, vcc
	v_cndmask_b32_e32 v4, v10, v4, vcc
	v_cmp_ge_f64_e32 vcc, v[4:5], v[0:1]
	s_and_b64 s[8:9], s[2:3], vcc
	s_and_saveexec_b64 s[4:5], s[8:9]
	s_cbranch_execz .LBB12_30
; %bb.29:
	global_store_dword v[6:7], v16, off
.LBB12_30:
	s_or_b64 exec, exec, s[4:5]
	s_mov_b64 s[4:5], 0
.LBB12_31:
	s_andn2_b64 vcc, exec, s[4:5]
	s_cbranch_vccnz .LBB12_42
; %bb.32:
	s_load_dwordx2 s[0:1], s[0:1], 0x48
	s_waitcnt lgkmcnt(0)
	v_cmp_ge_f64_e32 vcc, s[0:1], v[0:1]
	s_and_b64 s[4:5], s[2:3], vcc
	v_add_u32_e32 v0, s28, v2
	s_and_saveexec_b64 s[0:1], s[4:5]
	s_cbranch_execz .LBB12_37
; %bb.33:
	s_mov_b64 s[4:5], exec
	s_brev_b32 s8, -2
.LBB12_34:                              ; =>This Inner Loop Header: Depth=1
	s_ff1_i32_b64 s9, s[4:5]
	v_readlane_b32 s14, v0, s9
	s_lshl_b64 s[10:11], 1, s9
	s_min_i32 s8, s8, s14
	s_andn2_b64 s[4:5], s[4:5], s[10:11]
	s_cmp_lg_u64 s[4:5], 0
	s_cbranch_scc1 .LBB12_34
; %bb.35:
	v_mbcnt_lo_u32_b32 v1, exec_lo, 0
	v_mbcnt_hi_u32_b32 v1, exec_hi, v1
	v_cmp_eq_u32_e32 vcc, 0, v1
	s_and_saveexec_b64 s[4:5], vcc
	s_xor_b64 s[4:5], exec, s[4:5]
	s_cbranch_execz .LBB12_37
; %bb.36:
	v_mov_b32_e32 v1, 0
	v_mov_b32_e32 v4, s8
	global_atomic_smin v1, v4, s[18:19]
.LBB12_37:
	s_or_b64 exec, exec, s[0:1]
	v_cmp_eq_f32_e32 vcc, 0, v8
	s_and_b64 s[0:1], s[2:3], vcc
	s_and_b64 exec, exec, s[0:1]
	s_cbranch_execz .LBB12_42
; %bb.38:
	s_mov_b64 s[0:1], exec
	s_brev_b32 s2, -2
.LBB12_39:                              ; =>This Inner Loop Header: Depth=1
	s_ff1_i32_b64 s3, s[0:1]
	v_readlane_b32 s8, v0, s3
	s_lshl_b64 s[4:5], 1, s3
	s_min_i32 s2, s2, s8
	s_andn2_b64 s[0:1], s[0:1], s[4:5]
	s_cmp_lg_u64 s[0:1], 0
	s_cbranch_scc1 .LBB12_39
; %bb.40:
	v_mbcnt_lo_u32_b32 v0, exec_lo, 0
	v_mbcnt_hi_u32_b32 v0, exec_hi, v0
	v_cmp_eq_u32_e32 vcc, 0, v0
	s_and_saveexec_b64 s[0:1], vcc
	s_xor_b64 s[0:1], exec, s[0:1]
	s_cbranch_execz .LBB12_42
; %bb.41:
	v_mov_b32_e32 v0, 0
	v_mov_b32_e32 v1, s2
	global_atomic_smin v0, v1, s[16:17]
.LBB12_42:
	s_or_b64 exec, exec, s[6:7]
	v_cmp_eq_u32_e32 vcc, 0, v14
	buffer_wbl2 sc1
	s_waitcnt vmcnt(0)
	buffer_inv sc1
	s_and_b64 exec, exec, vcc
	s_cbranch_execz .LBB12_44
; %bb.43:
	v_lshl_add_u64 v[0:1], v[2:3], 2, s[12:13]
	v_mov_b32_e32 v2, 1
	buffer_wbl2 sc1
	global_store_dword v[0:1], v2, off sc1
.LBB12_44:
	s_endpgm
	.section	.rodata,"a",@progbits
	.p2align	6, 0x0
	.amdhsa_kernel _ZN9rocsparseL17csrilu0_binsearchILj256ELj64ELb0EfEEviPKiS2_PT2_S2_PiS2_S5_S5_d21rocsparse_index_base_imNS_24const_host_device_scalarIfEENS7_IdEENS7_IS3_EEb
		.amdhsa_group_segment_fixed_size 0
		.amdhsa_private_segment_fixed_size 0
		.amdhsa_kernarg_size 124
		.amdhsa_user_sgpr_count 2
		.amdhsa_user_sgpr_dispatch_ptr 0
		.amdhsa_user_sgpr_queue_ptr 0
		.amdhsa_user_sgpr_kernarg_segment_ptr 1
		.amdhsa_user_sgpr_dispatch_id 0
		.amdhsa_user_sgpr_kernarg_preload_length 0
		.amdhsa_user_sgpr_kernarg_preload_offset 0
		.amdhsa_user_sgpr_private_segment_size 0
		.amdhsa_uses_dynamic_stack 0
		.amdhsa_enable_private_segment 0
		.amdhsa_system_sgpr_workgroup_id_x 1
		.amdhsa_system_sgpr_workgroup_id_y 0
		.amdhsa_system_sgpr_workgroup_id_z 0
		.amdhsa_system_sgpr_workgroup_info 0
		.amdhsa_system_vgpr_workitem_id 0
		.amdhsa_next_free_vgpr 24
		.amdhsa_next_free_sgpr 38
		.amdhsa_accum_offset 24
		.amdhsa_reserve_vcc 1
		.amdhsa_float_round_mode_32 0
		.amdhsa_float_round_mode_16_64 0
		.amdhsa_float_denorm_mode_32 3
		.amdhsa_float_denorm_mode_16_64 3
		.amdhsa_dx10_clamp 1
		.amdhsa_ieee_mode 1
		.amdhsa_fp16_overflow 0
		.amdhsa_tg_split 0
		.amdhsa_exception_fp_ieee_invalid_op 0
		.amdhsa_exception_fp_denorm_src 0
		.amdhsa_exception_fp_ieee_div_zero 0
		.amdhsa_exception_fp_ieee_overflow 0
		.amdhsa_exception_fp_ieee_underflow 0
		.amdhsa_exception_fp_ieee_inexact 0
		.amdhsa_exception_int_div_zero 0
	.end_amdhsa_kernel
	.section	.text._ZN9rocsparseL17csrilu0_binsearchILj256ELj64ELb0EfEEviPKiS2_PT2_S2_PiS2_S5_S5_d21rocsparse_index_base_imNS_24const_host_device_scalarIfEENS7_IdEENS7_IS3_EEb,"axG",@progbits,_ZN9rocsparseL17csrilu0_binsearchILj256ELj64ELb0EfEEviPKiS2_PT2_S2_PiS2_S5_S5_d21rocsparse_index_base_imNS_24const_host_device_scalarIfEENS7_IdEENS7_IS3_EEb,comdat
.Lfunc_end12:
	.size	_ZN9rocsparseL17csrilu0_binsearchILj256ELj64ELb0EfEEviPKiS2_PT2_S2_PiS2_S5_S5_d21rocsparse_index_base_imNS_24const_host_device_scalarIfEENS7_IdEENS7_IS3_EEb, .Lfunc_end12-_ZN9rocsparseL17csrilu0_binsearchILj256ELj64ELb0EfEEviPKiS2_PT2_S2_PiS2_S5_S5_d21rocsparse_index_base_imNS_24const_host_device_scalarIfEENS7_IdEENS7_IS3_EEb
                                        ; -- End function
	.set _ZN9rocsparseL17csrilu0_binsearchILj256ELj64ELb0EfEEviPKiS2_PT2_S2_PiS2_S5_S5_d21rocsparse_index_base_imNS_24const_host_device_scalarIfEENS7_IdEENS7_IS3_EEb.num_vgpr, 24
	.set _ZN9rocsparseL17csrilu0_binsearchILj256ELj64ELb0EfEEviPKiS2_PT2_S2_PiS2_S5_S5_d21rocsparse_index_base_imNS_24const_host_device_scalarIfEENS7_IdEENS7_IS3_EEb.num_agpr, 0
	.set _ZN9rocsparseL17csrilu0_binsearchILj256ELj64ELb0EfEEviPKiS2_PT2_S2_PiS2_S5_S5_d21rocsparse_index_base_imNS_24const_host_device_scalarIfEENS7_IdEENS7_IS3_EEb.numbered_sgpr, 38
	.set _ZN9rocsparseL17csrilu0_binsearchILj256ELj64ELb0EfEEviPKiS2_PT2_S2_PiS2_S5_S5_d21rocsparse_index_base_imNS_24const_host_device_scalarIfEENS7_IdEENS7_IS3_EEb.num_named_barrier, 0
	.set _ZN9rocsparseL17csrilu0_binsearchILj256ELj64ELb0EfEEviPKiS2_PT2_S2_PiS2_S5_S5_d21rocsparse_index_base_imNS_24const_host_device_scalarIfEENS7_IdEENS7_IS3_EEb.private_seg_size, 0
	.set _ZN9rocsparseL17csrilu0_binsearchILj256ELj64ELb0EfEEviPKiS2_PT2_S2_PiS2_S5_S5_d21rocsparse_index_base_imNS_24const_host_device_scalarIfEENS7_IdEENS7_IS3_EEb.uses_vcc, 1
	.set _ZN9rocsparseL17csrilu0_binsearchILj256ELj64ELb0EfEEviPKiS2_PT2_S2_PiS2_S5_S5_d21rocsparse_index_base_imNS_24const_host_device_scalarIfEENS7_IdEENS7_IS3_EEb.uses_flat_scratch, 0
	.set _ZN9rocsparseL17csrilu0_binsearchILj256ELj64ELb0EfEEviPKiS2_PT2_S2_PiS2_S5_S5_d21rocsparse_index_base_imNS_24const_host_device_scalarIfEENS7_IdEENS7_IS3_EEb.has_dyn_sized_stack, 0
	.set _ZN9rocsparseL17csrilu0_binsearchILj256ELj64ELb0EfEEviPKiS2_PT2_S2_PiS2_S5_S5_d21rocsparse_index_base_imNS_24const_host_device_scalarIfEENS7_IdEENS7_IS3_EEb.has_recursion, 0
	.set _ZN9rocsparseL17csrilu0_binsearchILj256ELj64ELb0EfEEviPKiS2_PT2_S2_PiS2_S5_S5_d21rocsparse_index_base_imNS_24const_host_device_scalarIfEENS7_IdEENS7_IS3_EEb.has_indirect_call, 0
	.section	.AMDGPU.csdata,"",@progbits
; Kernel info:
; codeLenInByte = 1432
; TotalNumSgprs: 44
; NumVgprs: 24
; NumAgprs: 0
; TotalNumVgprs: 24
; ScratchSize: 0
; MemoryBound: 0
; FloatMode: 240
; IeeeMode: 1
; LDSByteSize: 0 bytes/workgroup (compile time only)
; SGPRBlocks: 5
; VGPRBlocks: 2
; NumSGPRsForWavesPerEU: 44
; NumVGPRsForWavesPerEU: 24
; AccumOffset: 24
; Occupancy: 8
; WaveLimiterHint : 1
; COMPUTE_PGM_RSRC2:SCRATCH_EN: 0
; COMPUTE_PGM_RSRC2:USER_SGPR: 2
; COMPUTE_PGM_RSRC2:TRAP_HANDLER: 0
; COMPUTE_PGM_RSRC2:TGID_X_EN: 1
; COMPUTE_PGM_RSRC2:TGID_Y_EN: 0
; COMPUTE_PGM_RSRC2:TGID_Z_EN: 0
; COMPUTE_PGM_RSRC2:TIDIG_COMP_CNT: 0
; COMPUTE_PGM_RSRC3_GFX90A:ACCUM_OFFSET: 5
; COMPUTE_PGM_RSRC3_GFX90A:TG_SPLIT: 0
	.section	.text._ZN9rocsparseL17csrilu0_binsearchILj256ELj64ELb1EdEEviPKiS2_PT2_S2_PiS2_S5_S5_d21rocsparse_index_base_imNS_24const_host_device_scalarIfEENS7_IdEENS7_IS3_EEb,"axG",@progbits,_ZN9rocsparseL17csrilu0_binsearchILj256ELj64ELb1EdEEviPKiS2_PT2_S2_PiS2_S5_S5_d21rocsparse_index_base_imNS_24const_host_device_scalarIfEENS7_IdEENS7_IS3_EEb,comdat
	.globl	_ZN9rocsparseL17csrilu0_binsearchILj256ELj64ELb1EdEEviPKiS2_PT2_S2_PiS2_S5_S5_d21rocsparse_index_base_imNS_24const_host_device_scalarIfEENS7_IdEENS7_IS3_EEb ; -- Begin function _ZN9rocsparseL17csrilu0_binsearchILj256ELj64ELb1EdEEviPKiS2_PT2_S2_PiS2_S5_S5_d21rocsparse_index_base_imNS_24const_host_device_scalarIfEENS7_IdEENS7_IS3_EEb
	.p2align	8
	.type	_ZN9rocsparseL17csrilu0_binsearchILj256ELj64ELb1EdEEviPKiS2_PT2_S2_PiS2_S5_S5_d21rocsparse_index_base_imNS_24const_host_device_scalarIfEENS7_IdEENS7_IS3_EEb,@function
_ZN9rocsparseL17csrilu0_binsearchILj256ELj64ELb1EdEEviPKiS2_PT2_S2_PiS2_S5_S5_d21rocsparse_index_base_imNS_24const_host_device_scalarIfEENS7_IdEENS7_IS3_EEb: ; @_ZN9rocsparseL17csrilu0_binsearchILj256ELj64ELb1EdEEviPKiS2_PT2_S2_PiS2_S5_S5_d21rocsparse_index_base_imNS_24const_host_device_scalarIfEENS7_IdEENS7_IS3_EEb
; %bb.0:
	s_load_dword s3, s[0:1], 0x78
	s_load_dwordx2 s[28:29], s[0:1], 0x50
	s_load_dwordx8 s[20:27], s[0:1], 0x58
	s_waitcnt lgkmcnt(0)
	s_bitcmp1_b32 s3, 0
	s_cselect_b64 s[4:5], -1, 0
	s_cmp_eq_u32 s29, 0
	s_cselect_b64 s[6:7], -1, 0
	s_cmp_lg_u32 s29, 0
	s_cselect_b64 s[30:31], -1, 0
	s_or_b64 s[4:5], s[6:7], s[4:5]
	s_xor_b64 s[8:9], s[4:5], -1
	s_and_b64 s[10:11], s[6:7], exec
	s_cselect_b32 s11, 0, s25
	s_cselect_b32 s10, 0, s24
	s_and_b64 vcc, exec, s[4:5]
	s_cbranch_vccnz .LBB13_2
; %bb.1:
	s_load_dword s3, s[22:23], 0x0
	s_mov_b64 s[10:11], s[24:25]
	s_waitcnt lgkmcnt(0)
	v_mov_b32_e32 v17, s3
	s_branch .LBB13_3
.LBB13_2:
	v_mov_b32_e32 v1, s22
	v_cndmask_b32_e64 v17, v1, 0, s[6:7]
.LBB13_3:
	v_cndmask_b32_e64 v1, 0, 1, s[8:9]
	v_cmp_ne_u32_e64 s[4:5], 1, v1
	s_andn2_b64 vcc, exec, s[8:9]
	v_mov_b64_e32 v[4:5], s[10:11]
	s_cbranch_vccnz .LBB13_5
; %bb.4:
	v_mov_b64_e32 v[2:3], s[24:25]
	flat_load_dwordx2 v[4:5], v[2:3]
.LBB13_5:
	s_and_b64 s[6:7], s[6:7], exec
	s_cselect_b32 s7, 0, s27
	s_cselect_b32 s6, 0, s26
	s_and_b64 vcc, exec, s[4:5]
	v_mov_b64_e32 v[20:21], s[6:7]
	s_cbranch_vccnz .LBB13_7
; %bb.6:
	v_mov_b64_e32 v[2:3], s[26:27]
	flat_load_dwordx2 v[20:21], v[2:3]
.LBB13_7:
	s_load_dword s3, s[0:1], 0x0
	s_lshl_b32 s2, s2, 2
	v_lshrrev_b32_e32 v1, 6, v0
	s_and_b32 s2, s2, 0x3fffffc
	v_or_b32_e32 v1, s2, v1
	s_waitcnt lgkmcnt(0)
	v_cmp_gt_i32_e32 vcc, s3, v1
	s_and_saveexec_b64 s[2:3], vcc
	s_cbranch_execz .LBB13_45
; %bb.8:
	s_load_dwordx16 s[4:19], s[0:1], 0x8
	v_lshlrev_b32_e32 v1, 2, v1
	v_and_b32_e32 v16, 63, v0
	s_waitcnt lgkmcnt(0)
	global_load_dword v2, v1, s[14:15]
	s_waitcnt vmcnt(0)
	v_ashrrev_i32_e32 v3, 31, v2
	v_lshlrev_b64 v[6:7], 2, v[2:3]
	v_lshl_add_u64 v[8:9], s[4:5], 0, v[6:7]
	v_lshl_add_u64 v[10:11], s[10:11], 0, v[6:7]
	global_load_dword v1, v[8:9], off
	global_load_dword v6, v[10:11], off
	s_waitcnt vmcnt(1)
	v_subrev_u32_e32 v0, s28, v1
	s_waitcnt vmcnt(0)
	v_cmp_lt_i32_e32 vcc, v0, v6
	s_and_saveexec_b64 s[2:3], vcc
	s_cbranch_execz .LBB13_27
; %bb.9:
	global_load_dword v1, v[8:9], off offset:4
	v_add_u32_e32 v7, 1, v16
	s_mov_b64 s[14:15], 0
	s_waitcnt vmcnt(0)
	v_xad_u32 v18, s28, -1, v1
	s_branch .LBB13_12
.LBB13_10:                              ;   in Loop: Header=BB13_12 Depth=1
	s_or_b64 exec, exec, s[24:25]
	v_cmp_ge_i32_e32 vcc, v0, v6
	s_orn2_b64 s[24:25], vcc, exec
.LBB13_11:                              ;   in Loop: Header=BB13_12 Depth=1
	s_or_b64 exec, exec, s[22:23]
	s_and_b64 s[22:23], exec, s[24:25]
	s_or_b64 s[14:15], s[22:23], s[14:15]
	s_andn2_b64 exec, exec, s[14:15]
	s_cbranch_execz .LBB13_27
.LBB13_12:                              ; =>This Loop Header: Depth=1
                                        ;     Child Loop BB13_15 Depth 2
                                        ;       Child Loop BB13_16 Depth 3
                                        ;     Child Loop BB13_21 Depth 2
                                        ;       Child Loop BB13_23 Depth 3
	v_ashrrev_i32_e32 v1, 31, v0
	v_lshl_add_u64 v[8:9], v[0:1], 2, s[6:7]
	global_load_dword v12, v[8:9], off
	v_lshl_add_u64 v[10:11], v[0:1], 3, s[8:9]
	global_load_dwordx2 v[8:9], v[10:11], off
	s_waitcnt vmcnt(1)
	v_subrev_u32_e32 v12, s28, v12
	v_ashrrev_i32_e32 v13, 31, v12
	v_lshlrev_b64 v[12:13], 2, v[12:13]
	v_lshl_add_u64 v[22:23], s[4:5], 0, v[12:13]
	v_lshl_add_u64 v[24:25], s[10:11], 0, v[12:13]
	;; [unrolled: 1-line block ×3, first 2 shown]
	global_load_dword v1, v[22:23], off offset:4
	global_load_dword v14, v[24:25], off
	global_load_dword v15, v[12:13], off sc1
	s_waitcnt vmcnt(0)
	v_cmp_eq_u32_e32 vcc, 0, v15
	s_and_saveexec_b64 s[22:23], vcc
	s_cbranch_execz .LBB13_17
; %bb.13:                               ;   in Loop: Header=BB13_12 Depth=1
	s_mov_b32 s26, 0
	s_mov_b64 s[24:25], 0
	s_branch .LBB13_15
.LBB13_14:                              ;   in Loop: Header=BB13_15 Depth=2
	global_load_dword v15, v[12:13], off sc1
	s_cmpk_lt_u32 s26, 0xf43
	s_cselect_b64 s[34:35], -1, 0
	s_cmp_lg_u64 s[34:35], 0
	s_addc_u32 s26, s26, 0
	s_waitcnt vmcnt(0)
	v_cmp_ne_u32_e32 vcc, 0, v15
	s_or_b64 s[24:25], vcc, s[24:25]
	s_andn2_b64 exec, exec, s[24:25]
	s_cbranch_execz .LBB13_17
.LBB13_15:                              ;   Parent Loop BB13_12 Depth=1
                                        ; =>  This Loop Header: Depth=2
                                        ;       Child Loop BB13_16 Depth 3
	s_cmp_eq_u32 s26, 0
	s_mov_b32 s27, s26
	s_cbranch_scc1 .LBB13_14
.LBB13_16:                              ;   Parent Loop BB13_12 Depth=1
                                        ;     Parent Loop BB13_15 Depth=2
                                        ; =>    This Inner Loop Header: Depth=3
	s_add_i32 s27, s27, -1
	s_cmp_eq_u32 s27, 0
	s_sleep 1
	s_cbranch_scc0 .LBB13_16
	s_branch .LBB13_14
.LBB13_17:                              ;   in Loop: Header=BB13_12 Depth=1
	s_or_b64 exec, exec, s[22:23]
	v_subrev_u32_e32 v1, s28, v1
	v_add_u32_e32 v12, -1, v1
	v_cmp_eq_u32_e32 vcc, -1, v14
	buffer_inv sc1
	s_mov_b64 s[24:25], -1
	v_cndmask_b32_e32 v12, v14, v12, vcc
	v_ashrrev_i32_e32 v13, 31, v12
	v_lshl_add_u64 v[14:15], v[12:13], 3, s[8:9]
	global_load_dwordx2 v[14:15], v[14:15], off
	s_waitcnt vmcnt(0)
	v_cmp_neq_f64_e32 vcc, 0, v[14:15]
	s_and_saveexec_b64 s[22:23], vcc
	s_xor_b64 s[22:23], exec, s[22:23]
	s_cbranch_execz .LBB13_11
; %bb.18:                               ;   in Loop: Header=BB13_12 Depth=1
	v_div_scale_f64 v[22:23], s[24:25], v[14:15], v[14:15], v[8:9]
	v_rcp_f64_e32 v[24:25], v[22:23]
	v_div_scale_f64 v[26:27], vcc, v[8:9], v[14:15], v[8:9]
	v_add_u32_e32 v0, 1, v0
	v_fma_f64 v[28:29], -v[22:23], v[24:25], 1.0
	v_fmac_f64_e32 v[24:25], v[24:25], v[28:29]
	v_fma_f64 v[28:29], -v[22:23], v[24:25], 1.0
	v_fmac_f64_e32 v[24:25], v[24:25], v[28:29]
	v_mul_f64 v[28:29], v[26:27], v[24:25]
	v_fma_f64 v[22:23], -v[22:23], v[28:29], v[26:27]
	v_div_fmas_f64 v[22:23], v[22:23], v[24:25], v[28:29]
	v_div_fixup_f64 v[8:9], v[22:23], v[14:15], v[8:9]
	global_store_dwordx2 v[10:11], v[8:9], off
	v_add_u32_e32 v10, v7, v12
	v_cmp_lt_i32_e32 vcc, v10, v1
	s_and_saveexec_b64 s[24:25], vcc
	s_cbranch_execz .LBB13_10
; %bb.19:                               ;   in Loop: Header=BB13_12 Depth=1
	s_mov_b64 s[26:27], 0
	v_mov_b32_e32 v12, v0
	s_branch .LBB13_21
.LBB13_20:                              ;   in Loop: Header=BB13_21 Depth=2
	s_or_b64 exec, exec, s[34:35]
	v_add_u32_e32 v10, 64, v10
	v_cmp_ge_i32_e32 vcc, v10, v1
	s_or_b64 s[26:27], vcc, s[26:27]
	s_andn2_b64 exec, exec, s[26:27]
	s_cbranch_execz .LBB13_10
.LBB13_21:                              ;   Parent Loop BB13_12 Depth=1
                                        ; =>  This Loop Header: Depth=2
                                        ;       Child Loop BB13_23 Depth 3
	v_add_u32_e32 v13, v12, v18
	v_ashrrev_i32_e32 v11, 31, v10
	v_ashrrev_i32_e32 v14, 1, v13
	v_lshl_add_u64 v[22:23], v[10:11], 2, s[6:7]
	v_ashrrev_i32_e32 v15, 31, v14
	v_lshl_add_u64 v[24:25], v[14:15], 2, s[6:7]
	global_load_dword v13, v[22:23], off
	global_load_dword v15, v[24:25], off
	v_cmp_lt_i32_e32 vcc, v12, v18
	s_and_saveexec_b64 s[34:35], vcc
	s_cbranch_execz .LBB13_25
; %bb.22:                               ;   in Loop: Header=BB13_21 Depth=2
	s_mov_b64 s[36:37], 0
	v_mov_b32_e32 v19, v18
.LBB13_23:                              ;   Parent Loop BB13_12 Depth=1
                                        ;     Parent Loop BB13_21 Depth=2
                                        ; =>    This Inner Loop Header: Depth=3
	v_add_u32_e32 v22, 1, v14
	s_waitcnt vmcnt(0)
	v_cmp_lt_i32_e32 vcc, v15, v13
	s_nop 1
	v_cndmask_b32_e32 v19, v14, v19, vcc
	v_cndmask_b32_e32 v12, v12, v22, vcc
	v_add_u32_e32 v14, v19, v12
	v_ashrrev_i32_e32 v14, 1, v14
	v_ashrrev_i32_e32 v15, 31, v14
	v_lshl_add_u64 v[22:23], v[14:15], 2, s[6:7]
	global_load_dword v15, v[22:23], off
	v_cmp_ge_i32_e32 vcc, v12, v19
	s_or_b64 s[36:37], vcc, s[36:37]
	s_andn2_b64 exec, exec, s[36:37]
	s_cbranch_execnz .LBB13_23
; %bb.24:                               ;   in Loop: Header=BB13_21 Depth=2
	s_or_b64 exec, exec, s[36:37]
.LBB13_25:                              ;   in Loop: Header=BB13_21 Depth=2
	s_or_b64 exec, exec, s[34:35]
	s_waitcnt vmcnt(0)
	v_cmp_eq_u32_e32 vcc, v15, v13
	s_and_saveexec_b64 s[34:35], vcc
	s_cbranch_execz .LBB13_20
; %bb.26:                               ;   in Loop: Header=BB13_21 Depth=2
	v_lshl_add_u64 v[14:15], v[10:11], 3, s[8:9]
	v_ashrrev_i32_e32 v13, 31, v12
	v_lshl_add_u64 v[22:23], v[12:13], 3, s[8:9]
	global_load_dwordx2 v[24:25], v[14:15], off
	global_load_dwordx2 v[26:27], v[22:23], off
	s_waitcnt vmcnt(0)
	v_fma_f64 v[14:15], -v[8:9], v[24:25], v[26:27]
	global_store_dwordx2 v[22:23], v[14:15], off
	s_branch .LBB13_20
.LBB13_27:
	s_or_b64 exec, exec, s[2:3]
	v_cmp_lt_i32_e32 vcc, -1, v6
	s_and_saveexec_b64 s[6:7], vcc
	s_cbranch_execz .LBB13_43
; %bb.28:
	v_mov_b32_e32 v7, 0
	v_lshl_add_u64 v[8:9], v[6:7], 3, s[8:9]
	global_load_dwordx2 v[0:1], v[8:9], off
	v_cmp_eq_u32_e64 s[2:3], 0, v16
	s_andn2_b64 vcc, exec, s[30:31]
	s_waitcnt vmcnt(0)
	v_xor_b32_e32 v7, 0x80000000, v1
	v_cmp_gt_f64_e64 s[4:5], 0, v[0:1]
	v_mov_b32_e32 v6, v0
	s_nop 0
	v_cndmask_b32_e64 v7, v1, v7, s[4:5]
	s_mov_b64 s[4:5], -1
	s_cbranch_vccnz .LBB13_32
; %bb.29:
	s_cmp_eq_u64 s[20:21], 8
	v_cvt_f64_f32_e32 v[10:11], v17
	s_cselect_b64 vcc, -1, 0
	v_cndmask_b32_e32 v5, v11, v5, vcc
	v_cndmask_b32_e32 v4, v10, v4, vcc
	v_cmp_le_f64_e32 vcc, v[6:7], v[4:5]
	s_and_b64 s[8:9], s[2:3], vcc
	s_and_saveexec_b64 s[4:5], s[8:9]
	s_cbranch_execz .LBB13_31
; %bb.30:
	global_store_dwordx2 v[8:9], v[20:21], off
.LBB13_31:
	s_or_b64 exec, exec, s[4:5]
	s_mov_b64 s[4:5], 0
.LBB13_32:
	s_andn2_b64 vcc, exec, s[4:5]
	s_cbranch_vccnz .LBB13_43
; %bb.33:
	s_load_dwordx2 s[0:1], s[0:1], 0x48
	v_add_u32_e32 v4, s28, v2
	s_waitcnt lgkmcnt(0)
	v_cmp_ge_f64_e32 vcc, s[0:1], v[6:7]
	s_and_b64 s[4:5], s[2:3], vcc
	s_and_saveexec_b64 s[0:1], s[4:5]
	s_cbranch_execz .LBB13_38
; %bb.34:
	s_mov_b64 s[4:5], exec
	s_brev_b32 s8, -2
.LBB13_35:                              ; =>This Inner Loop Header: Depth=1
	s_ff1_i32_b64 s9, s[4:5]
	v_readlane_b32 s14, v4, s9
	s_lshl_b64 s[10:11], 1, s9
	s_min_i32 s8, s8, s14
	s_andn2_b64 s[4:5], s[4:5], s[10:11]
	s_cmp_lg_u64 s[4:5], 0
	s_cbranch_scc1 .LBB13_35
; %bb.36:
	v_mbcnt_lo_u32_b32 v5, exec_lo, 0
	v_mbcnt_hi_u32_b32 v5, exec_hi, v5
	v_cmp_eq_u32_e32 vcc, 0, v5
	s_and_saveexec_b64 s[4:5], vcc
	s_xor_b64 s[4:5], exec, s[4:5]
	s_cbranch_execz .LBB13_38
; %bb.37:
	v_mov_b32_e32 v5, 0
	v_mov_b32_e32 v6, s8
	global_atomic_smin v5, v6, s[18:19]
.LBB13_38:
	s_or_b64 exec, exec, s[0:1]
	v_cmp_eq_f64_e32 vcc, 0, v[0:1]
	s_and_b64 s[0:1], s[2:3], vcc
	s_and_b64 exec, exec, s[0:1]
	s_cbranch_execz .LBB13_43
; %bb.39:
	s_mov_b64 s[0:1], exec
	s_brev_b32 s2, -2
.LBB13_40:                              ; =>This Inner Loop Header: Depth=1
	s_ff1_i32_b64 s3, s[0:1]
	v_readlane_b32 s8, v4, s3
	s_lshl_b64 s[4:5], 1, s3
	s_min_i32 s2, s2, s8
	s_andn2_b64 s[0:1], s[0:1], s[4:5]
	s_cmp_lg_u64 s[0:1], 0
	s_cbranch_scc1 .LBB13_40
; %bb.41:
	v_mbcnt_lo_u32_b32 v0, exec_lo, 0
	v_mbcnt_hi_u32_b32 v0, exec_hi, v0
	v_cmp_eq_u32_e32 vcc, 0, v0
	s_and_saveexec_b64 s[0:1], vcc
	s_xor_b64 s[0:1], exec, s[0:1]
	s_cbranch_execz .LBB13_43
; %bb.42:
	v_mov_b32_e32 v0, 0
	v_mov_b32_e32 v1, s2
	global_atomic_smin v0, v1, s[16:17]
.LBB13_43:
	s_or_b64 exec, exec, s[6:7]
	v_cmp_eq_u32_e32 vcc, 0, v16
	buffer_wbl2 sc1
	s_waitcnt vmcnt(0)
	buffer_inv sc1
	s_and_b64 exec, exec, vcc
	s_cbranch_execz .LBB13_45
; %bb.44:
	v_lshl_add_u64 v[0:1], v[2:3], 2, s[12:13]
	v_mov_b32_e32 v2, 1
	buffer_wbl2 sc1
	global_store_dword v[0:1], v2, off sc1
.LBB13_45:
	s_endpgm
	.section	.rodata,"a",@progbits
	.p2align	6, 0x0
	.amdhsa_kernel _ZN9rocsparseL17csrilu0_binsearchILj256ELj64ELb1EdEEviPKiS2_PT2_S2_PiS2_S5_S5_d21rocsparse_index_base_imNS_24const_host_device_scalarIfEENS7_IdEENS7_IS3_EEb
		.amdhsa_group_segment_fixed_size 0
		.amdhsa_private_segment_fixed_size 0
		.amdhsa_kernarg_size 124
		.amdhsa_user_sgpr_count 2
		.amdhsa_user_sgpr_dispatch_ptr 0
		.amdhsa_user_sgpr_queue_ptr 0
		.amdhsa_user_sgpr_kernarg_segment_ptr 1
		.amdhsa_user_sgpr_dispatch_id 0
		.amdhsa_user_sgpr_kernarg_preload_length 0
		.amdhsa_user_sgpr_kernarg_preload_offset 0
		.amdhsa_user_sgpr_private_segment_size 0
		.amdhsa_uses_dynamic_stack 0
		.amdhsa_enable_private_segment 0
		.amdhsa_system_sgpr_workgroup_id_x 1
		.amdhsa_system_sgpr_workgroup_id_y 0
		.amdhsa_system_sgpr_workgroup_id_z 0
		.amdhsa_system_sgpr_workgroup_info 0
		.amdhsa_system_vgpr_workitem_id 0
		.amdhsa_next_free_vgpr 30
		.amdhsa_next_free_sgpr 38
		.amdhsa_accum_offset 32
		.amdhsa_reserve_vcc 1
		.amdhsa_float_round_mode_32 0
		.amdhsa_float_round_mode_16_64 0
		.amdhsa_float_denorm_mode_32 3
		.amdhsa_float_denorm_mode_16_64 3
		.amdhsa_dx10_clamp 1
		.amdhsa_ieee_mode 1
		.amdhsa_fp16_overflow 0
		.amdhsa_tg_split 0
		.amdhsa_exception_fp_ieee_invalid_op 0
		.amdhsa_exception_fp_denorm_src 0
		.amdhsa_exception_fp_ieee_div_zero 0
		.amdhsa_exception_fp_ieee_overflow 0
		.amdhsa_exception_fp_ieee_underflow 0
		.amdhsa_exception_fp_ieee_inexact 0
		.amdhsa_exception_int_div_zero 0
	.end_amdhsa_kernel
	.section	.text._ZN9rocsparseL17csrilu0_binsearchILj256ELj64ELb1EdEEviPKiS2_PT2_S2_PiS2_S5_S5_d21rocsparse_index_base_imNS_24const_host_device_scalarIfEENS7_IdEENS7_IS3_EEb,"axG",@progbits,_ZN9rocsparseL17csrilu0_binsearchILj256ELj64ELb1EdEEviPKiS2_PT2_S2_PiS2_S5_S5_d21rocsparse_index_base_imNS_24const_host_device_scalarIfEENS7_IdEENS7_IS3_EEb,comdat
.Lfunc_end13:
	.size	_ZN9rocsparseL17csrilu0_binsearchILj256ELj64ELb1EdEEviPKiS2_PT2_S2_PiS2_S5_S5_d21rocsparse_index_base_imNS_24const_host_device_scalarIfEENS7_IdEENS7_IS3_EEb, .Lfunc_end13-_ZN9rocsparseL17csrilu0_binsearchILj256ELj64ELb1EdEEviPKiS2_PT2_S2_PiS2_S5_S5_d21rocsparse_index_base_imNS_24const_host_device_scalarIfEENS7_IdEENS7_IS3_EEb
                                        ; -- End function
	.set _ZN9rocsparseL17csrilu0_binsearchILj256ELj64ELb1EdEEviPKiS2_PT2_S2_PiS2_S5_S5_d21rocsparse_index_base_imNS_24const_host_device_scalarIfEENS7_IdEENS7_IS3_EEb.num_vgpr, 30
	.set _ZN9rocsparseL17csrilu0_binsearchILj256ELj64ELb1EdEEviPKiS2_PT2_S2_PiS2_S5_S5_d21rocsparse_index_base_imNS_24const_host_device_scalarIfEENS7_IdEENS7_IS3_EEb.num_agpr, 0
	.set _ZN9rocsparseL17csrilu0_binsearchILj256ELj64ELb1EdEEviPKiS2_PT2_S2_PiS2_S5_S5_d21rocsparse_index_base_imNS_24const_host_device_scalarIfEENS7_IdEENS7_IS3_EEb.numbered_sgpr, 38
	.set _ZN9rocsparseL17csrilu0_binsearchILj256ELj64ELb1EdEEviPKiS2_PT2_S2_PiS2_S5_S5_d21rocsparse_index_base_imNS_24const_host_device_scalarIfEENS7_IdEENS7_IS3_EEb.num_named_barrier, 0
	.set _ZN9rocsparseL17csrilu0_binsearchILj256ELj64ELb1EdEEviPKiS2_PT2_S2_PiS2_S5_S5_d21rocsparse_index_base_imNS_24const_host_device_scalarIfEENS7_IdEENS7_IS3_EEb.private_seg_size, 0
	.set _ZN9rocsparseL17csrilu0_binsearchILj256ELj64ELb1EdEEviPKiS2_PT2_S2_PiS2_S5_S5_d21rocsparse_index_base_imNS_24const_host_device_scalarIfEENS7_IdEENS7_IS3_EEb.uses_vcc, 1
	.set _ZN9rocsparseL17csrilu0_binsearchILj256ELj64ELb1EdEEviPKiS2_PT2_S2_PiS2_S5_S5_d21rocsparse_index_base_imNS_24const_host_device_scalarIfEENS7_IdEENS7_IS3_EEb.uses_flat_scratch, 0
	.set _ZN9rocsparseL17csrilu0_binsearchILj256ELj64ELb1EdEEviPKiS2_PT2_S2_PiS2_S5_S5_d21rocsparse_index_base_imNS_24const_host_device_scalarIfEENS7_IdEENS7_IS3_EEb.has_dyn_sized_stack, 0
	.set _ZN9rocsparseL17csrilu0_binsearchILj256ELj64ELb1EdEEviPKiS2_PT2_S2_PiS2_S5_S5_d21rocsparse_index_base_imNS_24const_host_device_scalarIfEENS7_IdEENS7_IS3_EEb.has_recursion, 0
	.set _ZN9rocsparseL17csrilu0_binsearchILj256ELj64ELb1EdEEviPKiS2_PT2_S2_PiS2_S5_S5_d21rocsparse_index_base_imNS_24const_host_device_scalarIfEENS7_IdEENS7_IS3_EEb.has_indirect_call, 0
	.section	.AMDGPU.csdata,"",@progbits
; Kernel info:
; codeLenInByte = 1488
; TotalNumSgprs: 44
; NumVgprs: 30
; NumAgprs: 0
; TotalNumVgprs: 30
; ScratchSize: 0
; MemoryBound: 0
; FloatMode: 240
; IeeeMode: 1
; LDSByteSize: 0 bytes/workgroup (compile time only)
; SGPRBlocks: 5
; VGPRBlocks: 3
; NumSGPRsForWavesPerEU: 44
; NumVGPRsForWavesPerEU: 30
; AccumOffset: 32
; Occupancy: 8
; WaveLimiterHint : 1
; COMPUTE_PGM_RSRC2:SCRATCH_EN: 0
; COMPUTE_PGM_RSRC2:USER_SGPR: 2
; COMPUTE_PGM_RSRC2:TRAP_HANDLER: 0
; COMPUTE_PGM_RSRC2:TGID_X_EN: 1
; COMPUTE_PGM_RSRC2:TGID_Y_EN: 0
; COMPUTE_PGM_RSRC2:TGID_Z_EN: 0
; COMPUTE_PGM_RSRC2:TIDIG_COMP_CNT: 0
; COMPUTE_PGM_RSRC3_GFX90A:ACCUM_OFFSET: 7
; COMPUTE_PGM_RSRC3_GFX90A:TG_SPLIT: 0
	.section	.text._ZN9rocsparseL12csrilu0_hashILj256ELj32ELj1EdEEviPKiS2_PT2_S2_PiS2_S5_S5_d21rocsparse_index_base_imNS_24const_host_device_scalarIfEENS7_IdEENS7_IS3_EEb,"axG",@progbits,_ZN9rocsparseL12csrilu0_hashILj256ELj32ELj1EdEEviPKiS2_PT2_S2_PiS2_S5_S5_d21rocsparse_index_base_imNS_24const_host_device_scalarIfEENS7_IdEENS7_IS3_EEb,comdat
	.globl	_ZN9rocsparseL12csrilu0_hashILj256ELj32ELj1EdEEviPKiS2_PT2_S2_PiS2_S5_S5_d21rocsparse_index_base_imNS_24const_host_device_scalarIfEENS7_IdEENS7_IS3_EEb ; -- Begin function _ZN9rocsparseL12csrilu0_hashILj256ELj32ELj1EdEEviPKiS2_PT2_S2_PiS2_S5_S5_d21rocsparse_index_base_imNS_24const_host_device_scalarIfEENS7_IdEENS7_IS3_EEb
	.p2align	8
	.type	_ZN9rocsparseL12csrilu0_hashILj256ELj32ELj1EdEEviPKiS2_PT2_S2_PiS2_S5_S5_d21rocsparse_index_base_imNS_24const_host_device_scalarIfEENS7_IdEENS7_IS3_EEb,@function
_ZN9rocsparseL12csrilu0_hashILj256ELj32ELj1EdEEviPKiS2_PT2_S2_PiS2_S5_S5_d21rocsparse_index_base_imNS_24const_host_device_scalarIfEENS7_IdEENS7_IS3_EEb: ; @_ZN9rocsparseL12csrilu0_hashILj256ELj32ELj1EdEEviPKiS2_PT2_S2_PiS2_S5_S5_d21rocsparse_index_base_imNS_24const_host_device_scalarIfEENS7_IdEENS7_IS3_EEb
; %bb.0:
	s_load_dword s3, s[0:1], 0x78
	s_load_dwordx2 s[28:29], s[0:1], 0x50
	s_load_dwordx8 s[20:27], s[0:1], 0x58
	s_waitcnt lgkmcnt(0)
	s_bitcmp1_b32 s3, 0
	s_cselect_b64 s[4:5], -1, 0
	s_cmp_eq_u32 s29, 0
	s_cselect_b64 s[6:7], -1, 0
	s_cmp_lg_u32 s29, 0
	s_cselect_b64 s[30:31], -1, 0
	s_or_b64 s[4:5], s[6:7], s[4:5]
	s_xor_b64 s[8:9], s[4:5], -1
	s_and_b64 s[10:11], s[6:7], exec
	s_cselect_b32 s11, 0, s25
	s_cselect_b32 s10, 0, s24
	s_and_b64 vcc, exec, s[4:5]
	s_cbranch_vccnz .LBB14_2
; %bb.1:
	s_load_dword s3, s[22:23], 0x0
	s_mov_b64 s[10:11], s[24:25]
	s_waitcnt lgkmcnt(0)
	v_mov_b32_e32 v17, s3
	s_branch .LBB14_3
.LBB14_2:
	v_mov_b32_e32 v1, s22
	v_cndmask_b32_e64 v17, v1, 0, s[6:7]
.LBB14_3:
	v_cndmask_b32_e64 v1, 0, 1, s[8:9]
	v_cmp_ne_u32_e64 s[4:5], 1, v1
	s_andn2_b64 vcc, exec, s[8:9]
	v_mov_b64_e32 v[2:3], s[10:11]
	s_cbranch_vccnz .LBB14_5
; %bb.4:
	v_mov_b64_e32 v[2:3], s[24:25]
	flat_load_dwordx2 v[2:3], v[2:3]
.LBB14_5:
	s_and_b64 s[6:7], s[6:7], exec
	s_cselect_b32 s7, 0, s27
	s_cselect_b32 s6, 0, s26
	s_and_b64 vcc, exec, s[4:5]
	v_mov_b64_e32 v[22:23], s[6:7]
	s_cbranch_vccnz .LBB14_7
; %bb.6:
	v_mov_b64_e32 v[4:5], s[26:27]
	flat_load_dwordx2 v[22:23], v[4:5]
.LBB14_7:
	s_load_dword s3, s[0:1], 0x0
	s_lshl_b32 s2, s2, 3
	v_and_b32_e32 v16, 31, v0
	v_and_b32_e32 v6, 0xe0, v0
	v_mov_b32_e32 v1, 0x400
	v_lshrrev_b32_e32 v0, 5, v0
	s_and_b32 s2, s2, 0x7fffff8
	v_lshl_or_b32 v5, v6, 2, v1
	v_or_b32_e32 v0, s2, v0
	v_lshl_or_b32 v1, v16, 2, v5
	v_mov_b32_e32 v4, -1
	s_waitcnt lgkmcnt(0)
	v_cmp_gt_i32_e32 vcc, s3, v0
	ds_write_b32 v1, v4
	s_waitcnt lgkmcnt(0)
	s_and_saveexec_b64 s[2:3], vcc
	s_cbranch_execz .LBB14_79
; %bb.8:
	s_load_dwordx16 s[4:19], s[0:1], 0x8
	v_lshlrev_b32_e32 v0, 2, v0
	v_lshlrev_b32_e32 v18, 2, v6
	s_waitcnt lgkmcnt(0)
	global_load_dword v0, v0, s[14:15]
	s_waitcnt vmcnt(0)
	v_ashrrev_i32_e32 v1, 31, v0
	v_lshlrev_b64 v[8:9], 2, v[0:1]
	v_lshl_add_u64 v[10:11], s[4:5], 0, v[8:9]
	global_load_dwordx2 v[10:11], v[10:11], off
	v_lshl_add_u64 v[8:9], s[10:11], 0, v[8:9]
	global_load_dword v4, v[8:9], off
	s_waitcnt vmcnt(1)
	v_subrev_u32_e32 v6, s28, v10
	v_subrev_u32_e32 v7, s28, v11
	v_add_u32_e32 v8, v6, v16
	v_cmp_lt_i32_e32 vcc, v8, v7
	s_and_saveexec_b64 s[2:3], vcc
	s_cbranch_execz .LBB14_31
; %bb.9:
	s_mov_b64 s[14:15], 0
	v_mov_b32_e32 v10, -1
	s_branch .LBB14_11
.LBB14_10:                              ;   in Loop: Header=BB14_11 Depth=1
	s_or_b64 exec, exec, s[22:23]
	v_add_u32_e32 v8, 32, v8
	v_cmp_ge_i32_e32 vcc, v8, v7
	s_or_b64 s[14:15], vcc, s[14:15]
	s_andn2_b64 exec, exec, s[14:15]
	s_cbranch_execz .LBB14_31
.LBB14_11:                              ; =>This Loop Header: Depth=1
                                        ;     Child Loop BB14_20 Depth 2
	v_ashrrev_i32_e32 v9, 31, v8
	v_lshl_add_u64 v[12:13], v[8:9], 2, s[6:7]
	global_load_dword v9, v[12:13], off
	v_mov_b32_e32 v11, 32
	s_mov_b64 s[24:25], 0
                                        ; implicit-def: $sgpr22_sgpr23
                                        ; implicit-def: $sgpr26_sgpr27
                                        ; implicit-def: $sgpr34_sgpr35
	s_waitcnt vmcnt(0)
	v_mul_lo_u32 v13, v9, 7
	s_branch .LBB14_20
.LBB14_12:                              ;   in Loop: Header=BB14_20 Depth=2
	s_or_b64 exec, exec, s[54:55]
	s_orn2_b64 s[50:51], s[50:51], exec
	s_orn2_b64 s[52:53], s[52:53], exec
.LBB14_13:                              ;   in Loop: Header=BB14_20 Depth=2
	s_or_b64 exec, exec, s[48:49]
	s_and_b64 s[50:51], s[50:51], exec
	s_orn2_b64 s[48:49], s[52:53], exec
.LBB14_14:                              ;   in Loop: Header=BB14_20 Depth=2
	s_or_b64 exec, exec, s[46:47]
	s_orn2_b64 s[50:51], s[50:51], exec
	s_orn2_b64 s[46:47], s[48:49], exec
.LBB14_15:                              ;   in Loop: Header=BB14_20 Depth=2
	s_or_b64 exec, exec, s[44:45]
	s_and_b64 s[48:49], s[50:51], exec
	s_orn2_b64 s[44:45], s[46:47], exec
.LBB14_16:                              ;   in Loop: Header=BB14_20 Depth=2
	s_or_b64 exec, exec, s[42:43]
	s_orn2_b64 s[42:43], s[48:49], exec
	s_orn2_b64 s[44:45], s[44:45], exec
.LBB14_17:                              ;   in Loop: Header=BB14_20 Depth=2
	s_or_b64 exec, exec, s[40:41]
	s_and_b64 s[42:43], s[42:43], exec
	s_orn2_b64 s[40:41], s[44:45], exec
.LBB14_18:                              ;   in Loop: Header=BB14_20 Depth=2
	s_or_b64 exec, exec, s[38:39]
	s_andn2_b64 s[34:35], s[34:35], exec
	s_and_b64 s[38:39], s[42:43], exec
	s_or_b64 s[34:35], s[34:35], s[38:39]
	s_andn2_b64 s[26:27], s[26:27], exec
	s_and_b64 s[38:39], s[40:41], exec
	s_or_b64 s[26:27], s[26:27], s[38:39]
.LBB14_19:                              ;   in Loop: Header=BB14_20 Depth=2
	s_or_b64 exec, exec, s[36:37]
	s_and_b64 s[36:37], exec, s[26:27]
	s_or_b64 s[24:25], s[36:37], s[24:25]
	s_andn2_b64 s[22:23], s[22:23], exec
	s_and_b64 s[36:37], s[34:35], exec
	s_or_b64 s[22:23], s[22:23], s[36:37]
	s_andn2_b64 exec, exec, s[24:25]
	s_cbranch_execz .LBB14_29
.LBB14_20:                              ;   Parent Loop BB14_11 Depth=1
                                        ; =>  This Inner Loop Header: Depth=2
	v_and_b32_e32 v12, 31, v13
	v_lshl_add_u32 v14, v12, 2, v5
	ds_read_b32 v15, v14
	s_or_b64 s[34:35], s[34:35], exec
	s_or_b64 s[26:27], s[26:27], exec
	s_waitcnt lgkmcnt(0)
	v_cmp_ne_u32_e32 vcc, v15, v9
	s_and_saveexec_b64 s[36:37], vcc
	s_cbranch_execz .LBB14_19
; %bb.21:                               ;   in Loop: Header=BB14_20 Depth=2
	ds_cmpst_rtn_b32 v14, v14, v10, v9
	s_mov_b64 s[40:41], -1
	s_mov_b64 s[42:43], 0
	s_waitcnt lgkmcnt(0)
	v_cmp_ne_u32_e32 vcc, -1, v14
	s_and_saveexec_b64 s[38:39], vcc
	s_cbranch_execz .LBB14_18
; %bb.22:                               ;   in Loop: Header=BB14_20 Depth=2
	v_add_u32_e32 v12, 1, v13
	v_and_b32_e32 v12, 31, v12
	v_lshl_add_u32 v14, v12, 2, v5
	ds_read_b32 v15, v14
	s_mov_b64 s[44:45], -1
	s_mov_b64 s[42:43], -1
	s_waitcnt lgkmcnt(0)
	v_cmp_ne_u32_e32 vcc, v15, v9
	s_and_saveexec_b64 s[40:41], vcc
	s_cbranch_execz .LBB14_17
; %bb.23:                               ;   in Loop: Header=BB14_20 Depth=2
	ds_cmpst_rtn_b32 v14, v14, v10, v9
	s_mov_b64 s[48:49], 0
	s_waitcnt lgkmcnt(0)
	v_cmp_ne_u32_e32 vcc, -1, v14
	s_and_saveexec_b64 s[42:43], vcc
	s_cbranch_execz .LBB14_16
; %bb.24:                               ;   in Loop: Header=BB14_20 Depth=2
	v_add_u32_e32 v12, 2, v13
	v_and_b32_e32 v12, 31, v12
	v_lshl_add_u32 v14, v12, 2, v5
	ds_read_b32 v15, v14
	s_mov_b64 s[46:47], -1
	s_mov_b64 s[50:51], -1
	s_waitcnt lgkmcnt(0)
	v_cmp_ne_u32_e32 vcc, v15, v9
	s_and_saveexec_b64 s[44:45], vcc
	s_cbranch_execz .LBB14_15
; %bb.25:                               ;   in Loop: Header=BB14_20 Depth=2
	ds_cmpst_rtn_b32 v14, v14, v10, v9
	s_mov_b64 s[48:49], -1
	s_mov_b64 s[50:51], 0
	s_waitcnt lgkmcnt(0)
	v_cmp_ne_u32_e32 vcc, -1, v14
	s_and_saveexec_b64 s[46:47], vcc
	s_cbranch_execz .LBB14_14
; %bb.26:                               ;   in Loop: Header=BB14_20 Depth=2
	v_add_u32_e32 v12, 3, v13
	v_and_b32_e32 v12, 31, v12
	v_lshl_add_u32 v14, v12, 2, v5
	ds_read_b32 v13, v14
	s_mov_b64 s[52:53], -1
	s_mov_b64 s[50:51], -1
	s_waitcnt lgkmcnt(0)
	v_cmp_ne_u32_e32 vcc, v13, v9
                                        ; implicit-def: $vgpr13
	s_and_saveexec_b64 s[48:49], vcc
	s_cbranch_execz .LBB14_13
; %bb.27:                               ;   in Loop: Header=BB14_20 Depth=2
	ds_cmpst_rtn_b32 v13, v14, v10, v9
	s_mov_b64 s[50:51], 0
	s_waitcnt lgkmcnt(0)
	v_cmp_ne_u32_e32 vcc, -1, v13
                                        ; implicit-def: $vgpr13
	s_and_saveexec_b64 s[54:55], vcc
	s_cbranch_execz .LBB14_12
; %bb.28:                               ;   in Loop: Header=BB14_20 Depth=2
	v_add_u32_e32 v11, -4, v11
	v_cmp_eq_u32_e32 vcc, 0, v11
	s_mov_b64 s[50:51], exec
	v_add_u32_e32 v13, 1, v12
	s_orn2_b64 s[52:53], vcc, exec
	s_branch .LBB14_12
.LBB14_29:                              ;   in Loop: Header=BB14_11 Depth=1
	s_or_b64 exec, exec, s[24:25]
	s_xor_b64 s[22:23], s[22:23], -1
	s_and_saveexec_b64 s[24:25], s[22:23]
	s_xor_b64 s[22:23], exec, s[24:25]
	s_cbranch_execz .LBB14_10
; %bb.30:                               ;   in Loop: Header=BB14_11 Depth=1
	v_lshl_add_u32 v9, v12, 2, v18
	ds_write_b32 v9, v8
	s_branch .LBB14_10
.LBB14_31:
	s_or_b64 exec, exec, s[2:3]
	s_waitcnt vmcnt(0)
	v_cmp_lt_i32_e32 vcc, v6, v4
	s_waitcnt lgkmcnt(0)
	s_and_saveexec_b64 s[2:3], vcc
	s_cbranch_execz .LBB14_61
; %bb.32:
	v_add_u32_e32 v19, 1, v16
	s_mov_b64 s[14:15], 0
	s_branch .LBB14_35
.LBB14_33:                              ;   in Loop: Header=BB14_35 Depth=1
	s_or_b64 exec, exec, s[24:25]
	v_add_u32_e32 v6, 1, v6
	v_cmp_ge_i32_e32 vcc, v6, v4
	s_orn2_b64 s[24:25], vcc, exec
.LBB14_34:                              ;   in Loop: Header=BB14_35 Depth=1
	s_or_b64 exec, exec, s[22:23]
	s_and_b64 s[22:23], exec, s[24:25]
	s_or_b64 s[14:15], s[22:23], s[14:15]
	s_andn2_b64 exec, exec, s[14:15]
	s_cbranch_execz .LBB14_61
.LBB14_35:                              ; =>This Loop Header: Depth=1
                                        ;     Child Loop BB14_36 Depth 2
                                        ;     Child Loop BB14_41 Depth 2
                                        ;       Child Loop BB14_50 Depth 3
	v_ashrrev_i32_e32 v7, 31, v6
	v_lshl_add_u64 v[8:9], v[6:7], 2, s[6:7]
	global_load_dword v12, v[8:9], off
	v_lshl_add_u64 v[10:11], v[6:7], 3, s[8:9]
	global_load_dwordx2 v[8:9], v[10:11], off
	s_mov_b64 s[22:23], 0
	s_waitcnt vmcnt(1)
	v_subrev_u32_e32 v12, s28, v12
	v_ashrrev_i32_e32 v13, 31, v12
	v_lshlrev_b64 v[12:13], 2, v[12:13]
	v_lshl_add_u64 v[20:21], s[4:5], 0, v[12:13]
	v_lshl_add_u64 v[24:25], s[10:11], 0, v[12:13]
	global_load_dword v7, v[20:21], off offset:4
	global_load_dword v14, v[24:25], off
	v_lshl_add_u64 v[12:13], s[12:13], 0, v[12:13]
.LBB14_36:                              ;   Parent Loop BB14_35 Depth=1
                                        ; =>  This Inner Loop Header: Depth=2
	global_load_dword v15, v[12:13], off sc1
	s_waitcnt vmcnt(0)
	v_cmp_ne_u32_e32 vcc, 0, v15
	s_or_b64 s[22:23], vcc, s[22:23]
	s_andn2_b64 exec, exec, s[22:23]
	s_cbranch_execnz .LBB14_36
; %bb.37:                               ;   in Loop: Header=BB14_35 Depth=1
	s_or_b64 exec, exec, s[22:23]
	v_subrev_u32_e32 v7, s28, v7
	v_add_u32_e32 v12, -1, v7
	v_cmp_eq_u32_e32 vcc, -1, v14
	buffer_inv sc1
	s_mov_b64 s[24:25], -1
	v_cndmask_b32_e32 v12, v14, v12, vcc
	v_ashrrev_i32_e32 v13, 31, v12
	v_lshl_add_u64 v[14:15], v[12:13], 3, s[8:9]
	global_load_dwordx2 v[14:15], v[14:15], off
	s_waitcnt vmcnt(0)
	v_cmp_neq_f64_e32 vcc, 0, v[14:15]
	s_and_saveexec_b64 s[22:23], vcc
	s_cbranch_execz .LBB14_34
; %bb.38:                               ;   in Loop: Header=BB14_35 Depth=1
	v_div_scale_f64 v[20:21], s[24:25], v[14:15], v[14:15], v[8:9]
	v_rcp_f64_e32 v[24:25], v[20:21]
	v_div_scale_f64 v[26:27], vcc, v[8:9], v[14:15], v[8:9]
	v_fma_f64 v[28:29], -v[20:21], v[24:25], 1.0
	v_fmac_f64_e32 v[24:25], v[24:25], v[28:29]
	v_fma_f64 v[28:29], -v[20:21], v[24:25], 1.0
	v_fmac_f64_e32 v[24:25], v[24:25], v[28:29]
	v_mul_f64 v[28:29], v[26:27], v[24:25]
	v_fma_f64 v[20:21], -v[20:21], v[28:29], v[26:27]
	v_div_fmas_f64 v[20:21], v[20:21], v[24:25], v[28:29]
	v_div_fixup_f64 v[8:9], v[20:21], v[14:15], v[8:9]
	global_store_dwordx2 v[10:11], v[8:9], off
	v_add_u32_e32 v10, v19, v12
	v_cmp_lt_i32_e32 vcc, v10, v7
	s_and_saveexec_b64 s[24:25], vcc
	s_cbranch_execz .LBB14_33
; %bb.39:                               ;   in Loop: Header=BB14_35 Depth=1
	s_mov_b64 s[26:27], 0
	s_branch .LBB14_41
.LBB14_40:                              ;   in Loop: Header=BB14_41 Depth=2
	s_or_b64 exec, exec, s[34:35]
	v_add_u32_e32 v10, 32, v10
	v_cmp_ge_i32_e32 vcc, v10, v7
	s_or_b64 s[26:27], vcc, s[26:27]
	s_andn2_b64 exec, exec, s[26:27]
	s_cbranch_execz .LBB14_33
.LBB14_41:                              ;   Parent Loop BB14_35 Depth=1
                                        ; =>  This Loop Header: Depth=2
                                        ;       Child Loop BB14_50 Depth 3
	v_ashrrev_i32_e32 v11, 31, v10
	v_lshl_add_u64 v[12:13], v[10:11], 2, s[6:7]
	global_load_dword v12, v[12:13], off
	v_mov_b32_e32 v13, 32
	s_mov_b64 s[36:37], 0
                                        ; implicit-def: $sgpr34_sgpr35
                                        ; implicit-def: $sgpr38_sgpr39
                                        ; implicit-def: $sgpr40_sgpr41
	s_waitcnt vmcnt(0)
	v_mul_lo_u32 v15, v12, 7
	s_branch .LBB14_50
.LBB14_42:                              ;   in Loop: Header=BB14_50 Depth=3
	s_or_b64 exec, exec, s[60:61]
	s_orn2_b64 s[56:57], s[56:57], exec
	s_orn2_b64 s[58:59], s[58:59], exec
.LBB14_43:                              ;   in Loop: Header=BB14_50 Depth=3
	s_or_b64 exec, exec, s[54:55]
	s_and_b64 s[56:57], s[56:57], exec
	s_orn2_b64 s[54:55], s[58:59], exec
.LBB14_44:                              ;   in Loop: Header=BB14_50 Depth=3
	s_or_b64 exec, exec, s[52:53]
	s_orn2_b64 s[56:57], s[56:57], exec
	s_orn2_b64 s[52:53], s[54:55], exec
.LBB14_45:                              ;   in Loop: Header=BB14_50 Depth=3
	s_or_b64 exec, exec, s[50:51]
	s_and_b64 s[54:55], s[56:57], exec
	s_orn2_b64 s[50:51], s[52:53], exec
.LBB14_46:                              ;   in Loop: Header=BB14_50 Depth=3
	s_or_b64 exec, exec, s[48:49]
	s_orn2_b64 s[48:49], s[54:55], exec
	s_orn2_b64 s[50:51], s[50:51], exec
.LBB14_47:                              ;   in Loop: Header=BB14_50 Depth=3
	s_or_b64 exec, exec, s[46:47]
	s_and_b64 s[48:49], s[48:49], exec
	s_orn2_b64 s[46:47], s[50:51], exec
.LBB14_48:                              ;   in Loop: Header=BB14_50 Depth=3
	s_or_b64 exec, exec, s[44:45]
	s_andn2_b64 s[40:41], s[40:41], exec
	s_and_b64 s[44:45], s[48:49], exec
	s_or_b64 s[40:41], s[40:41], s[44:45]
	s_andn2_b64 s[38:39], s[38:39], exec
	s_and_b64 s[44:45], s[46:47], exec
	s_or_b64 s[38:39], s[38:39], s[44:45]
.LBB14_49:                              ;   in Loop: Header=BB14_50 Depth=3
	s_or_b64 exec, exec, s[42:43]
	s_and_b64 s[42:43], exec, s[38:39]
	s_or_b64 s[36:37], s[42:43], s[36:37]
	s_andn2_b64 s[34:35], s[34:35], exec
	s_and_b64 s[42:43], s[40:41], exec
	s_or_b64 s[34:35], s[34:35], s[42:43]
	s_andn2_b64 exec, exec, s[36:37]
	s_cbranch_execz .LBB14_59
.LBB14_50:                              ;   Parent Loop BB14_35 Depth=1
                                        ;     Parent Loop BB14_41 Depth=2
                                        ; =>    This Inner Loop Header: Depth=3
	v_and_b32_e32 v14, 31, v15
	v_lshl_add_u32 v20, v14, 2, v5
	ds_read_b32 v20, v20
	s_or_b64 s[40:41], s[40:41], exec
	s_or_b64 s[38:39], s[38:39], exec
	s_waitcnt lgkmcnt(0)
	v_cmp_ne_u32_e32 vcc, -1, v20
	s_and_saveexec_b64 s[42:43], vcc
	s_cbranch_execz .LBB14_49
; %bb.51:                               ;   in Loop: Header=BB14_50 Depth=3
	v_cmp_ne_u32_e32 vcc, v20, v12
	s_mov_b64 s[46:47], -1
	s_mov_b64 s[48:49], 0
	s_and_saveexec_b64 s[44:45], vcc
	s_cbranch_execz .LBB14_48
; %bb.52:                               ;   in Loop: Header=BB14_50 Depth=3
	v_add_u32_e32 v14, 1, v15
	v_and_b32_e32 v14, 31, v14
	v_lshl_add_u32 v20, v14, 2, v5
	ds_read_b32 v20, v20
	s_mov_b64 s[50:51], -1
	s_mov_b64 s[48:49], -1
	s_waitcnt lgkmcnt(0)
	v_cmp_ne_u32_e32 vcc, -1, v20
	s_and_saveexec_b64 s[46:47], vcc
	s_cbranch_execz .LBB14_47
; %bb.53:                               ;   in Loop: Header=BB14_50 Depth=3
	v_cmp_ne_u32_e32 vcc, v20, v12
	s_mov_b64 s[54:55], 0
	s_and_saveexec_b64 s[48:49], vcc
	s_cbranch_execz .LBB14_46
; %bb.54:                               ;   in Loop: Header=BB14_50 Depth=3
	v_add_u32_e32 v14, 2, v15
	v_and_b32_e32 v14, 31, v14
	v_lshl_add_u32 v20, v14, 2, v5
	ds_read_b32 v20, v20
	s_mov_b64 s[52:53], -1
	s_mov_b64 s[56:57], -1
	s_waitcnt lgkmcnt(0)
	v_cmp_ne_u32_e32 vcc, -1, v20
	s_and_saveexec_b64 s[50:51], vcc
	s_cbranch_execz .LBB14_45
; %bb.55:                               ;   in Loop: Header=BB14_50 Depth=3
	v_cmp_ne_u32_e32 vcc, v20, v12
	s_mov_b64 s[54:55], -1
	s_mov_b64 s[56:57], 0
	s_and_saveexec_b64 s[52:53], vcc
	s_cbranch_execz .LBB14_44
; %bb.56:                               ;   in Loop: Header=BB14_50 Depth=3
	v_add_u32_e32 v14, 3, v15
	v_and_b32_e32 v14, 31, v14
	v_lshl_add_u32 v15, v14, 2, v5
	ds_read_b32 v20, v15
	s_mov_b64 s[58:59], -1
	s_mov_b64 s[56:57], -1
                                        ; implicit-def: $vgpr15
	s_waitcnt lgkmcnt(0)
	v_cmp_ne_u32_e32 vcc, -1, v20
	s_and_saveexec_b64 s[54:55], vcc
	s_cbranch_execz .LBB14_43
; %bb.57:                               ;   in Loop: Header=BB14_50 Depth=3
	v_cmp_ne_u32_e32 vcc, v20, v12
	s_mov_b64 s[56:57], 0
                                        ; implicit-def: $vgpr15
	s_and_saveexec_b64 s[60:61], vcc
	s_cbranch_execz .LBB14_42
; %bb.58:                               ;   in Loop: Header=BB14_50 Depth=3
	v_add_u32_e32 v13, -4, v13
	v_cmp_eq_u32_e32 vcc, 0, v13
	s_mov_b64 s[56:57], exec
	v_add_u32_e32 v15, 1, v14
	s_orn2_b64 s[58:59], vcc, exec
	s_branch .LBB14_42
.LBB14_59:                              ;   in Loop: Header=BB14_41 Depth=2
	s_or_b64 exec, exec, s[36:37]
	s_xor_b64 s[34:35], s[34:35], -1
	s_and_saveexec_b64 s[36:37], s[34:35]
	s_xor_b64 s[34:35], exec, s[36:37]
	s_cbranch_execz .LBB14_40
; %bb.60:                               ;   in Loop: Header=BB14_41 Depth=2
	v_lshl_add_u32 v12, v14, 2, v18
	ds_read_b32 v12, v12
	v_lshl_add_u64 v[14:15], v[10:11], 3, s[8:9]
	s_waitcnt lgkmcnt(0)
	v_ashrrev_i32_e32 v13, 31, v12
	v_lshl_add_u64 v[12:13], v[12:13], 3, s[8:9]
	global_load_dwordx2 v[20:21], v[14:15], off
	global_load_dwordx2 v[24:25], v[12:13], off
	s_waitcnt vmcnt(0)
	v_fma_f64 v[14:15], -v[8:9], v[20:21], v[24:25]
	global_store_dwordx2 v[12:13], v[14:15], off
	s_branch .LBB14_40
.LBB14_61:
	s_or_b64 exec, exec, s[2:3]
	v_cmp_lt_i32_e32 vcc, -1, v4
	s_and_saveexec_b64 s[6:7], vcc
	s_cbranch_execz .LBB14_77
; %bb.62:
	v_mov_b32_e32 v5, 0
	v_lshl_add_u64 v[8:9], v[4:5], 3, s[8:9]
	global_load_dwordx2 v[4:5], v[8:9], off
	v_cmp_eq_u32_e64 s[2:3], 0, v16
	s_andn2_b64 vcc, exec, s[30:31]
	s_waitcnt vmcnt(0)
	v_xor_b32_e32 v7, 0x80000000, v5
	v_cmp_gt_f64_e64 s[4:5], 0, v[4:5]
	v_mov_b32_e32 v6, v4
	s_nop 0
	v_cndmask_b32_e64 v7, v5, v7, s[4:5]
	s_mov_b64 s[4:5], -1
	s_cbranch_vccnz .LBB14_66
; %bb.63:
	s_cmp_eq_u64 s[20:21], 8
	v_cvt_f64_f32_e32 v[10:11], v17
	s_cselect_b64 vcc, -1, 0
	v_cndmask_b32_e32 v3, v11, v3, vcc
	v_cndmask_b32_e32 v2, v10, v2, vcc
	v_cmp_le_f64_e32 vcc, v[6:7], v[2:3]
	s_and_b64 s[8:9], s[2:3], vcc
	s_and_saveexec_b64 s[4:5], s[8:9]
	s_cbranch_execz .LBB14_65
; %bb.64:
	global_store_dwordx2 v[8:9], v[22:23], off
	buffer_wbl2 sc1
	s_waitcnt vmcnt(0)
	buffer_inv sc1
.LBB14_65:
	s_or_b64 exec, exec, s[4:5]
	s_mov_b64 s[4:5], 0
.LBB14_66:
	s_andn2_b64 vcc, exec, s[4:5]
	s_cbranch_vccnz .LBB14_77
; %bb.67:
	s_load_dwordx2 s[0:1], s[0:1], 0x48
	v_add_u32_e32 v2, s28, v0
	s_waitcnt lgkmcnt(0)
	v_cmp_ge_f64_e32 vcc, s[0:1], v[6:7]
	s_and_b64 s[4:5], s[2:3], vcc
	s_and_saveexec_b64 s[0:1], s[4:5]
	s_cbranch_execz .LBB14_72
; %bb.68:
	s_mov_b64 s[4:5], exec
	s_brev_b32 s8, -2
.LBB14_69:                              ; =>This Inner Loop Header: Depth=1
	s_ff1_i32_b64 s9, s[4:5]
	v_readlane_b32 s14, v2, s9
	s_lshl_b64 s[10:11], 1, s9
	s_min_i32 s8, s8, s14
	s_andn2_b64 s[4:5], s[4:5], s[10:11]
	s_cmp_lg_u64 s[4:5], 0
	s_cbranch_scc1 .LBB14_69
; %bb.70:
	v_mbcnt_lo_u32_b32 v3, exec_lo, 0
	v_mbcnt_hi_u32_b32 v3, exec_hi, v3
	v_cmp_eq_u32_e32 vcc, 0, v3
	s_and_saveexec_b64 s[4:5], vcc
	s_xor_b64 s[4:5], exec, s[4:5]
	s_cbranch_execz .LBB14_72
; %bb.71:
	v_mov_b32_e32 v3, 0
	v_mov_b32_e32 v6, s8
	global_atomic_smin v3, v6, s[18:19]
.LBB14_72:
	s_or_b64 exec, exec, s[0:1]
	v_cmp_eq_f64_e32 vcc, 0, v[4:5]
	s_and_b64 s[0:1], s[2:3], vcc
	s_and_b64 exec, exec, s[0:1]
	s_cbranch_execz .LBB14_77
; %bb.73:
	s_mov_b64 s[0:1], exec
	s_brev_b32 s2, -2
.LBB14_74:                              ; =>This Inner Loop Header: Depth=1
	s_ff1_i32_b64 s3, s[0:1]
	v_readlane_b32 s8, v2, s3
	s_lshl_b64 s[4:5], 1, s3
	s_min_i32 s2, s2, s8
	s_andn2_b64 s[0:1], s[0:1], s[4:5]
	s_cmp_lg_u64 s[0:1], 0
	s_cbranch_scc1 .LBB14_74
; %bb.75:
	v_mbcnt_lo_u32_b32 v2, exec_lo, 0
	v_mbcnt_hi_u32_b32 v2, exec_hi, v2
	v_cmp_eq_u32_e32 vcc, 0, v2
	s_and_saveexec_b64 s[0:1], vcc
	s_xor_b64 s[0:1], exec, s[0:1]
	s_cbranch_execz .LBB14_77
; %bb.76:
	v_mov_b32_e32 v2, 0
	v_mov_b32_e32 v3, s2
	global_atomic_smin v2, v3, s[16:17]
.LBB14_77:
	s_or_b64 exec, exec, s[6:7]
	v_cmp_eq_u32_e32 vcc, 0, v16
	buffer_wbl2 sc1
	s_waitcnt vmcnt(0)
	buffer_inv sc1
	s_and_b64 exec, exec, vcc
	s_cbranch_execz .LBB14_79
; %bb.78:
	v_lshl_add_u64 v[0:1], v[0:1], 2, s[12:13]
	v_mov_b32_e32 v2, 1
	buffer_wbl2 sc1
	global_store_dword v[0:1], v2, off sc1
.LBB14_79:
	s_endpgm
	.section	.rodata,"a",@progbits
	.p2align	6, 0x0
	.amdhsa_kernel _ZN9rocsparseL12csrilu0_hashILj256ELj32ELj1EdEEviPKiS2_PT2_S2_PiS2_S5_S5_d21rocsparse_index_base_imNS_24const_host_device_scalarIfEENS7_IdEENS7_IS3_EEb
		.amdhsa_group_segment_fixed_size 2048
		.amdhsa_private_segment_fixed_size 0
		.amdhsa_kernarg_size 124
		.amdhsa_user_sgpr_count 2
		.amdhsa_user_sgpr_dispatch_ptr 0
		.amdhsa_user_sgpr_queue_ptr 0
		.amdhsa_user_sgpr_kernarg_segment_ptr 1
		.amdhsa_user_sgpr_dispatch_id 0
		.amdhsa_user_sgpr_kernarg_preload_length 0
		.amdhsa_user_sgpr_kernarg_preload_offset 0
		.amdhsa_user_sgpr_private_segment_size 0
		.amdhsa_uses_dynamic_stack 0
		.amdhsa_enable_private_segment 0
		.amdhsa_system_sgpr_workgroup_id_x 1
		.amdhsa_system_sgpr_workgroup_id_y 0
		.amdhsa_system_sgpr_workgroup_id_z 0
		.amdhsa_system_sgpr_workgroup_info 0
		.amdhsa_system_vgpr_workitem_id 0
		.amdhsa_next_free_vgpr 30
		.amdhsa_next_free_sgpr 62
		.amdhsa_accum_offset 32
		.amdhsa_reserve_vcc 1
		.amdhsa_float_round_mode_32 0
		.amdhsa_float_round_mode_16_64 0
		.amdhsa_float_denorm_mode_32 3
		.amdhsa_float_denorm_mode_16_64 3
		.amdhsa_dx10_clamp 1
		.amdhsa_ieee_mode 1
		.amdhsa_fp16_overflow 0
		.amdhsa_tg_split 0
		.amdhsa_exception_fp_ieee_invalid_op 0
		.amdhsa_exception_fp_denorm_src 0
		.amdhsa_exception_fp_ieee_div_zero 0
		.amdhsa_exception_fp_ieee_overflow 0
		.amdhsa_exception_fp_ieee_underflow 0
		.amdhsa_exception_fp_ieee_inexact 0
		.amdhsa_exception_int_div_zero 0
	.end_amdhsa_kernel
	.section	.text._ZN9rocsparseL12csrilu0_hashILj256ELj32ELj1EdEEviPKiS2_PT2_S2_PiS2_S5_S5_d21rocsparse_index_base_imNS_24const_host_device_scalarIfEENS7_IdEENS7_IS3_EEb,"axG",@progbits,_ZN9rocsparseL12csrilu0_hashILj256ELj32ELj1EdEEviPKiS2_PT2_S2_PiS2_S5_S5_d21rocsparse_index_base_imNS_24const_host_device_scalarIfEENS7_IdEENS7_IS3_EEb,comdat
.Lfunc_end14:
	.size	_ZN9rocsparseL12csrilu0_hashILj256ELj32ELj1EdEEviPKiS2_PT2_S2_PiS2_S5_S5_d21rocsparse_index_base_imNS_24const_host_device_scalarIfEENS7_IdEENS7_IS3_EEb, .Lfunc_end14-_ZN9rocsparseL12csrilu0_hashILj256ELj32ELj1EdEEviPKiS2_PT2_S2_PiS2_S5_S5_d21rocsparse_index_base_imNS_24const_host_device_scalarIfEENS7_IdEENS7_IS3_EEb
                                        ; -- End function
	.set _ZN9rocsparseL12csrilu0_hashILj256ELj32ELj1EdEEviPKiS2_PT2_S2_PiS2_S5_S5_d21rocsparse_index_base_imNS_24const_host_device_scalarIfEENS7_IdEENS7_IS3_EEb.num_vgpr, 30
	.set _ZN9rocsparseL12csrilu0_hashILj256ELj32ELj1EdEEviPKiS2_PT2_S2_PiS2_S5_S5_d21rocsparse_index_base_imNS_24const_host_device_scalarIfEENS7_IdEENS7_IS3_EEb.num_agpr, 0
	.set _ZN9rocsparseL12csrilu0_hashILj256ELj32ELj1EdEEviPKiS2_PT2_S2_PiS2_S5_S5_d21rocsparse_index_base_imNS_24const_host_device_scalarIfEENS7_IdEENS7_IS3_EEb.numbered_sgpr, 62
	.set _ZN9rocsparseL12csrilu0_hashILj256ELj32ELj1EdEEviPKiS2_PT2_S2_PiS2_S5_S5_d21rocsparse_index_base_imNS_24const_host_device_scalarIfEENS7_IdEENS7_IS3_EEb.num_named_barrier, 0
	.set _ZN9rocsparseL12csrilu0_hashILj256ELj32ELj1EdEEviPKiS2_PT2_S2_PiS2_S5_S5_d21rocsparse_index_base_imNS_24const_host_device_scalarIfEENS7_IdEENS7_IS3_EEb.private_seg_size, 0
	.set _ZN9rocsparseL12csrilu0_hashILj256ELj32ELj1EdEEviPKiS2_PT2_S2_PiS2_S5_S5_d21rocsparse_index_base_imNS_24const_host_device_scalarIfEENS7_IdEENS7_IS3_EEb.uses_vcc, 1
	.set _ZN9rocsparseL12csrilu0_hashILj256ELj32ELj1EdEEviPKiS2_PT2_S2_PiS2_S5_S5_d21rocsparse_index_base_imNS_24const_host_device_scalarIfEENS7_IdEENS7_IS3_EEb.uses_flat_scratch, 0
	.set _ZN9rocsparseL12csrilu0_hashILj256ELj32ELj1EdEEviPKiS2_PT2_S2_PiS2_S5_S5_d21rocsparse_index_base_imNS_24const_host_device_scalarIfEENS7_IdEENS7_IS3_EEb.has_dyn_sized_stack, 0
	.set _ZN9rocsparseL12csrilu0_hashILj256ELj32ELj1EdEEviPKiS2_PT2_S2_PiS2_S5_S5_d21rocsparse_index_base_imNS_24const_host_device_scalarIfEENS7_IdEENS7_IS3_EEb.has_recursion, 0
	.set _ZN9rocsparseL12csrilu0_hashILj256ELj32ELj1EdEEviPKiS2_PT2_S2_PiS2_S5_S5_d21rocsparse_index_base_imNS_24const_host_device_scalarIfEENS7_IdEENS7_IS3_EEb.has_indirect_call, 0
	.section	.AMDGPU.csdata,"",@progbits
; Kernel info:
; codeLenInByte = 2404
; TotalNumSgprs: 68
; NumVgprs: 30
; NumAgprs: 0
; TotalNumVgprs: 30
; ScratchSize: 0
; MemoryBound: 0
; FloatMode: 240
; IeeeMode: 1
; LDSByteSize: 2048 bytes/workgroup (compile time only)
; SGPRBlocks: 8
; VGPRBlocks: 3
; NumSGPRsForWavesPerEU: 68
; NumVGPRsForWavesPerEU: 30
; AccumOffset: 32
; Occupancy: 8
; WaveLimiterHint : 1
; COMPUTE_PGM_RSRC2:SCRATCH_EN: 0
; COMPUTE_PGM_RSRC2:USER_SGPR: 2
; COMPUTE_PGM_RSRC2:TRAP_HANDLER: 0
; COMPUTE_PGM_RSRC2:TGID_X_EN: 1
; COMPUTE_PGM_RSRC2:TGID_Y_EN: 0
; COMPUTE_PGM_RSRC2:TGID_Z_EN: 0
; COMPUTE_PGM_RSRC2:TIDIG_COMP_CNT: 0
; COMPUTE_PGM_RSRC3_GFX90A:ACCUM_OFFSET: 7
; COMPUTE_PGM_RSRC3_GFX90A:TG_SPLIT: 0
	.section	.text._ZN9rocsparseL12csrilu0_hashILj256ELj32ELj2EdEEviPKiS2_PT2_S2_PiS2_S5_S5_d21rocsparse_index_base_imNS_24const_host_device_scalarIfEENS7_IdEENS7_IS3_EEb,"axG",@progbits,_ZN9rocsparseL12csrilu0_hashILj256ELj32ELj2EdEEviPKiS2_PT2_S2_PiS2_S5_S5_d21rocsparse_index_base_imNS_24const_host_device_scalarIfEENS7_IdEENS7_IS3_EEb,comdat
	.globl	_ZN9rocsparseL12csrilu0_hashILj256ELj32ELj2EdEEviPKiS2_PT2_S2_PiS2_S5_S5_d21rocsparse_index_base_imNS_24const_host_device_scalarIfEENS7_IdEENS7_IS3_EEb ; -- Begin function _ZN9rocsparseL12csrilu0_hashILj256ELj32ELj2EdEEviPKiS2_PT2_S2_PiS2_S5_S5_d21rocsparse_index_base_imNS_24const_host_device_scalarIfEENS7_IdEENS7_IS3_EEb
	.p2align	8
	.type	_ZN9rocsparseL12csrilu0_hashILj256ELj32ELj2EdEEviPKiS2_PT2_S2_PiS2_S5_S5_d21rocsparse_index_base_imNS_24const_host_device_scalarIfEENS7_IdEENS7_IS3_EEb,@function
_ZN9rocsparseL12csrilu0_hashILj256ELj32ELj2EdEEviPKiS2_PT2_S2_PiS2_S5_S5_d21rocsparse_index_base_imNS_24const_host_device_scalarIfEENS7_IdEENS7_IS3_EEb: ; @_ZN9rocsparseL12csrilu0_hashILj256ELj32ELj2EdEEviPKiS2_PT2_S2_PiS2_S5_S5_d21rocsparse_index_base_imNS_24const_host_device_scalarIfEENS7_IdEENS7_IS3_EEb
; %bb.0:
	s_load_dword s3, s[0:1], 0x78
	s_load_dwordx2 s[28:29], s[0:1], 0x50
	s_load_dwordx8 s[20:27], s[0:1], 0x58
	s_waitcnt lgkmcnt(0)
	s_bitcmp1_b32 s3, 0
	s_cselect_b64 s[4:5], -1, 0
	s_cmp_eq_u32 s29, 0
	s_cselect_b64 s[6:7], -1, 0
	s_cmp_lg_u32 s29, 0
	s_cselect_b64 s[30:31], -1, 0
	s_or_b64 s[4:5], s[6:7], s[4:5]
	s_xor_b64 s[8:9], s[4:5], -1
	s_and_b64 s[10:11], s[6:7], exec
	s_cselect_b32 s11, 0, s25
	s_cselect_b32 s10, 0, s24
	s_and_b64 vcc, exec, s[4:5]
	s_cbranch_vccnz .LBB15_2
; %bb.1:
	s_load_dword s3, s[22:23], 0x0
	s_mov_b64 s[10:11], s[24:25]
	s_waitcnt lgkmcnt(0)
	v_mov_b32_e32 v17, s3
	s_branch .LBB15_3
.LBB15_2:
	v_mov_b32_e32 v1, s22
	v_cndmask_b32_e64 v17, v1, 0, s[6:7]
.LBB15_3:
	v_cndmask_b32_e64 v1, 0, 1, s[8:9]
	v_cmp_ne_u32_e64 s[4:5], 1, v1
	s_andn2_b64 vcc, exec, s[8:9]
	v_mov_b64_e32 v[2:3], s[10:11]
	s_cbranch_vccnz .LBB15_5
; %bb.4:
	v_mov_b64_e32 v[2:3], s[24:25]
	flat_load_dwordx2 v[2:3], v[2:3]
.LBB15_5:
	s_and_b64 s[6:7], s[6:7], exec
	s_cselect_b32 s7, 0, s27
	s_cselect_b32 s6, 0, s26
	s_and_b64 vcc, exec, s[4:5]
	v_mov_b64_e32 v[22:23], s[6:7]
	s_cbranch_vccnz .LBB15_7
; %bb.6:
	v_mov_b64_e32 v[4:5], s[26:27]
	flat_load_dwordx2 v[22:23], v[4:5]
.LBB15_7:
	s_load_dword s3, s[0:1], 0x0
	v_lshlrev_b32_e32 v1, 1, v0
	s_lshl_b32 s2, s2, 3
	v_and_b32_e32 v16, 31, v0
	v_and_b32_e32 v6, 0x1c0, v1
	v_mov_b32_e32 v1, 0x800
	v_lshrrev_b32_e32 v0, 5, v0
	s_and_b32 s2, s2, 0x7fffff8
	v_lshl_or_b32 v5, v6, 2, v1
	v_or_b32_e32 v0, s2, v0
	v_lshl_or_b32 v1, v16, 2, v5
	v_mov_b32_e32 v4, -1
	s_waitcnt lgkmcnt(0)
	v_cmp_gt_i32_e32 vcc, s3, v0
	ds_write2_b32 v1, v4, v4 offset1:32
	s_waitcnt lgkmcnt(0)
	s_and_saveexec_b64 s[2:3], vcc
	s_cbranch_execz .LBB15_79
; %bb.8:
	s_load_dwordx16 s[4:19], s[0:1], 0x8
	v_lshlrev_b32_e32 v0, 2, v0
	v_lshlrev_b32_e32 v18, 2, v6
	s_waitcnt lgkmcnt(0)
	global_load_dword v0, v0, s[14:15]
	s_waitcnt vmcnt(0)
	v_ashrrev_i32_e32 v1, 31, v0
	v_lshlrev_b64 v[8:9], 2, v[0:1]
	v_lshl_add_u64 v[10:11], s[4:5], 0, v[8:9]
	global_load_dwordx2 v[10:11], v[10:11], off
	v_lshl_add_u64 v[8:9], s[10:11], 0, v[8:9]
	global_load_dword v4, v[8:9], off
	s_waitcnt vmcnt(1)
	v_subrev_u32_e32 v6, s28, v10
	v_subrev_u32_e32 v7, s28, v11
	v_add_u32_e32 v8, v6, v16
	v_cmp_lt_i32_e32 vcc, v8, v7
	s_and_saveexec_b64 s[2:3], vcc
	s_cbranch_execz .LBB15_31
; %bb.9:
	s_mov_b64 s[14:15], 0
	v_mov_b32_e32 v10, -1
	s_branch .LBB15_11
.LBB15_10:                              ;   in Loop: Header=BB15_11 Depth=1
	s_or_b64 exec, exec, s[22:23]
	v_add_u32_e32 v8, 32, v8
	v_cmp_ge_i32_e32 vcc, v8, v7
	s_or_b64 s[14:15], vcc, s[14:15]
	s_andn2_b64 exec, exec, s[14:15]
	s_cbranch_execz .LBB15_31
.LBB15_11:                              ; =>This Loop Header: Depth=1
                                        ;     Child Loop BB15_20 Depth 2
	v_ashrrev_i32_e32 v9, 31, v8
	v_lshl_add_u64 v[12:13], v[8:9], 2, s[6:7]
	global_load_dword v9, v[12:13], off
	v_mov_b32_e32 v11, 64
	s_mov_b64 s[24:25], 0
                                        ; implicit-def: $sgpr22_sgpr23
                                        ; implicit-def: $sgpr26_sgpr27
                                        ; implicit-def: $sgpr34_sgpr35
	s_waitcnt vmcnt(0)
	v_mul_lo_u32 v13, v9, 39
	s_branch .LBB15_20
.LBB15_12:                              ;   in Loop: Header=BB15_20 Depth=2
	s_or_b64 exec, exec, s[54:55]
	s_orn2_b64 s[50:51], s[50:51], exec
	s_orn2_b64 s[52:53], s[52:53], exec
.LBB15_13:                              ;   in Loop: Header=BB15_20 Depth=2
	s_or_b64 exec, exec, s[48:49]
	s_and_b64 s[50:51], s[50:51], exec
	s_orn2_b64 s[48:49], s[52:53], exec
.LBB15_14:                              ;   in Loop: Header=BB15_20 Depth=2
	s_or_b64 exec, exec, s[46:47]
	s_orn2_b64 s[50:51], s[50:51], exec
	s_orn2_b64 s[46:47], s[48:49], exec
.LBB15_15:                              ;   in Loop: Header=BB15_20 Depth=2
	s_or_b64 exec, exec, s[44:45]
	s_and_b64 s[48:49], s[50:51], exec
	s_orn2_b64 s[44:45], s[46:47], exec
.LBB15_16:                              ;   in Loop: Header=BB15_20 Depth=2
	s_or_b64 exec, exec, s[42:43]
	s_orn2_b64 s[42:43], s[48:49], exec
	s_orn2_b64 s[44:45], s[44:45], exec
.LBB15_17:                              ;   in Loop: Header=BB15_20 Depth=2
	s_or_b64 exec, exec, s[40:41]
	s_and_b64 s[42:43], s[42:43], exec
	s_orn2_b64 s[40:41], s[44:45], exec
.LBB15_18:                              ;   in Loop: Header=BB15_20 Depth=2
	s_or_b64 exec, exec, s[38:39]
	s_andn2_b64 s[34:35], s[34:35], exec
	s_and_b64 s[38:39], s[42:43], exec
	s_or_b64 s[34:35], s[34:35], s[38:39]
	s_andn2_b64 s[26:27], s[26:27], exec
	s_and_b64 s[38:39], s[40:41], exec
	s_or_b64 s[26:27], s[26:27], s[38:39]
.LBB15_19:                              ;   in Loop: Header=BB15_20 Depth=2
	s_or_b64 exec, exec, s[36:37]
	s_and_b64 s[36:37], exec, s[26:27]
	s_or_b64 s[24:25], s[36:37], s[24:25]
	s_andn2_b64 s[22:23], s[22:23], exec
	s_and_b64 s[36:37], s[34:35], exec
	s_or_b64 s[22:23], s[22:23], s[36:37]
	s_andn2_b64 exec, exec, s[24:25]
	s_cbranch_execz .LBB15_29
.LBB15_20:                              ;   Parent Loop BB15_11 Depth=1
                                        ; =>  This Inner Loop Header: Depth=2
	v_and_b32_e32 v12, 63, v13
	v_lshl_add_u32 v14, v12, 2, v5
	ds_read_b32 v15, v14
	s_or_b64 s[34:35], s[34:35], exec
	s_or_b64 s[26:27], s[26:27], exec
	s_waitcnt lgkmcnt(0)
	v_cmp_ne_u32_e32 vcc, v15, v9
	s_and_saveexec_b64 s[36:37], vcc
	s_cbranch_execz .LBB15_19
; %bb.21:                               ;   in Loop: Header=BB15_20 Depth=2
	ds_cmpst_rtn_b32 v14, v14, v10, v9
	s_mov_b64 s[40:41], -1
	s_mov_b64 s[42:43], 0
	s_waitcnt lgkmcnt(0)
	v_cmp_ne_u32_e32 vcc, -1, v14
	s_and_saveexec_b64 s[38:39], vcc
	s_cbranch_execz .LBB15_18
; %bb.22:                               ;   in Loop: Header=BB15_20 Depth=2
	v_add_u32_e32 v12, 1, v13
	v_and_b32_e32 v12, 63, v12
	v_lshl_add_u32 v14, v12, 2, v5
	ds_read_b32 v15, v14
	s_mov_b64 s[44:45], -1
	s_mov_b64 s[42:43], -1
	s_waitcnt lgkmcnt(0)
	v_cmp_ne_u32_e32 vcc, v15, v9
	s_and_saveexec_b64 s[40:41], vcc
	s_cbranch_execz .LBB15_17
; %bb.23:                               ;   in Loop: Header=BB15_20 Depth=2
	ds_cmpst_rtn_b32 v14, v14, v10, v9
	s_mov_b64 s[48:49], 0
	s_waitcnt lgkmcnt(0)
	v_cmp_ne_u32_e32 vcc, -1, v14
	s_and_saveexec_b64 s[42:43], vcc
	s_cbranch_execz .LBB15_16
; %bb.24:                               ;   in Loop: Header=BB15_20 Depth=2
	v_add_u32_e32 v12, 2, v13
	v_and_b32_e32 v12, 63, v12
	v_lshl_add_u32 v14, v12, 2, v5
	ds_read_b32 v15, v14
	s_mov_b64 s[46:47], -1
	s_mov_b64 s[50:51], -1
	s_waitcnt lgkmcnt(0)
	v_cmp_ne_u32_e32 vcc, v15, v9
	s_and_saveexec_b64 s[44:45], vcc
	s_cbranch_execz .LBB15_15
; %bb.25:                               ;   in Loop: Header=BB15_20 Depth=2
	ds_cmpst_rtn_b32 v14, v14, v10, v9
	s_mov_b64 s[48:49], -1
	s_mov_b64 s[50:51], 0
	s_waitcnt lgkmcnt(0)
	v_cmp_ne_u32_e32 vcc, -1, v14
	s_and_saveexec_b64 s[46:47], vcc
	s_cbranch_execz .LBB15_14
; %bb.26:                               ;   in Loop: Header=BB15_20 Depth=2
	v_add_u32_e32 v12, 3, v13
	v_and_b32_e32 v12, 63, v12
	v_lshl_add_u32 v14, v12, 2, v5
	ds_read_b32 v13, v14
	s_mov_b64 s[52:53], -1
	s_mov_b64 s[50:51], -1
	s_waitcnt lgkmcnt(0)
	v_cmp_ne_u32_e32 vcc, v13, v9
                                        ; implicit-def: $vgpr13
	s_and_saveexec_b64 s[48:49], vcc
	s_cbranch_execz .LBB15_13
; %bb.27:                               ;   in Loop: Header=BB15_20 Depth=2
	ds_cmpst_rtn_b32 v13, v14, v10, v9
	s_mov_b64 s[50:51], 0
	s_waitcnt lgkmcnt(0)
	v_cmp_ne_u32_e32 vcc, -1, v13
                                        ; implicit-def: $vgpr13
	s_and_saveexec_b64 s[54:55], vcc
	s_cbranch_execz .LBB15_12
; %bb.28:                               ;   in Loop: Header=BB15_20 Depth=2
	v_add_u32_e32 v11, -4, v11
	v_cmp_eq_u32_e32 vcc, 0, v11
	s_mov_b64 s[50:51], exec
	v_add_u32_e32 v13, 1, v12
	s_orn2_b64 s[52:53], vcc, exec
	s_branch .LBB15_12
.LBB15_29:                              ;   in Loop: Header=BB15_11 Depth=1
	s_or_b64 exec, exec, s[24:25]
	s_xor_b64 s[22:23], s[22:23], -1
	s_and_saveexec_b64 s[24:25], s[22:23]
	s_xor_b64 s[22:23], exec, s[24:25]
	s_cbranch_execz .LBB15_10
; %bb.30:                               ;   in Loop: Header=BB15_11 Depth=1
	v_lshl_add_u32 v9, v12, 2, v18
	ds_write_b32 v9, v8
	s_branch .LBB15_10
.LBB15_31:
	s_or_b64 exec, exec, s[2:3]
	s_waitcnt vmcnt(0)
	v_cmp_lt_i32_e32 vcc, v6, v4
	s_waitcnt lgkmcnt(0)
	s_and_saveexec_b64 s[2:3], vcc
	s_cbranch_execz .LBB15_61
; %bb.32:
	v_add_u32_e32 v19, 1, v16
	s_mov_b64 s[14:15], 0
	s_branch .LBB15_35
.LBB15_33:                              ;   in Loop: Header=BB15_35 Depth=1
	s_or_b64 exec, exec, s[24:25]
	v_add_u32_e32 v6, 1, v6
	v_cmp_ge_i32_e32 vcc, v6, v4
	s_orn2_b64 s[24:25], vcc, exec
.LBB15_34:                              ;   in Loop: Header=BB15_35 Depth=1
	s_or_b64 exec, exec, s[22:23]
	s_and_b64 s[22:23], exec, s[24:25]
	s_or_b64 s[14:15], s[22:23], s[14:15]
	s_andn2_b64 exec, exec, s[14:15]
	s_cbranch_execz .LBB15_61
.LBB15_35:                              ; =>This Loop Header: Depth=1
                                        ;     Child Loop BB15_36 Depth 2
                                        ;     Child Loop BB15_41 Depth 2
                                        ;       Child Loop BB15_50 Depth 3
	v_ashrrev_i32_e32 v7, 31, v6
	v_lshl_add_u64 v[8:9], v[6:7], 2, s[6:7]
	global_load_dword v12, v[8:9], off
	v_lshl_add_u64 v[10:11], v[6:7], 3, s[8:9]
	global_load_dwordx2 v[8:9], v[10:11], off
	s_mov_b64 s[22:23], 0
	s_waitcnt vmcnt(1)
	v_subrev_u32_e32 v12, s28, v12
	v_ashrrev_i32_e32 v13, 31, v12
	v_lshlrev_b64 v[12:13], 2, v[12:13]
	v_lshl_add_u64 v[20:21], s[4:5], 0, v[12:13]
	v_lshl_add_u64 v[24:25], s[10:11], 0, v[12:13]
	global_load_dword v7, v[20:21], off offset:4
	global_load_dword v14, v[24:25], off
	v_lshl_add_u64 v[12:13], s[12:13], 0, v[12:13]
.LBB15_36:                              ;   Parent Loop BB15_35 Depth=1
                                        ; =>  This Inner Loop Header: Depth=2
	global_load_dword v15, v[12:13], off sc1
	s_waitcnt vmcnt(0)
	v_cmp_ne_u32_e32 vcc, 0, v15
	s_or_b64 s[22:23], vcc, s[22:23]
	s_andn2_b64 exec, exec, s[22:23]
	s_cbranch_execnz .LBB15_36
; %bb.37:                               ;   in Loop: Header=BB15_35 Depth=1
	s_or_b64 exec, exec, s[22:23]
	v_subrev_u32_e32 v7, s28, v7
	v_add_u32_e32 v12, -1, v7
	v_cmp_eq_u32_e32 vcc, -1, v14
	buffer_inv sc1
	s_mov_b64 s[24:25], -1
	v_cndmask_b32_e32 v12, v14, v12, vcc
	v_ashrrev_i32_e32 v13, 31, v12
	v_lshl_add_u64 v[14:15], v[12:13], 3, s[8:9]
	global_load_dwordx2 v[14:15], v[14:15], off
	s_waitcnt vmcnt(0)
	v_cmp_neq_f64_e32 vcc, 0, v[14:15]
	s_and_saveexec_b64 s[22:23], vcc
	s_cbranch_execz .LBB15_34
; %bb.38:                               ;   in Loop: Header=BB15_35 Depth=1
	v_div_scale_f64 v[20:21], s[24:25], v[14:15], v[14:15], v[8:9]
	v_rcp_f64_e32 v[24:25], v[20:21]
	v_div_scale_f64 v[26:27], vcc, v[8:9], v[14:15], v[8:9]
	v_fma_f64 v[28:29], -v[20:21], v[24:25], 1.0
	v_fmac_f64_e32 v[24:25], v[24:25], v[28:29]
	v_fma_f64 v[28:29], -v[20:21], v[24:25], 1.0
	v_fmac_f64_e32 v[24:25], v[24:25], v[28:29]
	v_mul_f64 v[28:29], v[26:27], v[24:25]
	v_fma_f64 v[20:21], -v[20:21], v[28:29], v[26:27]
	v_div_fmas_f64 v[20:21], v[20:21], v[24:25], v[28:29]
	v_div_fixup_f64 v[8:9], v[20:21], v[14:15], v[8:9]
	global_store_dwordx2 v[10:11], v[8:9], off
	v_add_u32_e32 v10, v19, v12
	v_cmp_lt_i32_e32 vcc, v10, v7
	s_and_saveexec_b64 s[24:25], vcc
	s_cbranch_execz .LBB15_33
; %bb.39:                               ;   in Loop: Header=BB15_35 Depth=1
	s_mov_b64 s[26:27], 0
	s_branch .LBB15_41
.LBB15_40:                              ;   in Loop: Header=BB15_41 Depth=2
	s_or_b64 exec, exec, s[34:35]
	v_add_u32_e32 v10, 32, v10
	v_cmp_ge_i32_e32 vcc, v10, v7
	s_or_b64 s[26:27], vcc, s[26:27]
	s_andn2_b64 exec, exec, s[26:27]
	s_cbranch_execz .LBB15_33
.LBB15_41:                              ;   Parent Loop BB15_35 Depth=1
                                        ; =>  This Loop Header: Depth=2
                                        ;       Child Loop BB15_50 Depth 3
	v_ashrrev_i32_e32 v11, 31, v10
	v_lshl_add_u64 v[12:13], v[10:11], 2, s[6:7]
	global_load_dword v12, v[12:13], off
	v_mov_b32_e32 v13, 64
	s_mov_b64 s[36:37], 0
                                        ; implicit-def: $sgpr34_sgpr35
                                        ; implicit-def: $sgpr38_sgpr39
                                        ; implicit-def: $sgpr40_sgpr41
	s_waitcnt vmcnt(0)
	v_mul_lo_u32 v15, v12, 39
	s_branch .LBB15_50
.LBB15_42:                              ;   in Loop: Header=BB15_50 Depth=3
	s_or_b64 exec, exec, s[60:61]
	s_orn2_b64 s[56:57], s[56:57], exec
	s_orn2_b64 s[58:59], s[58:59], exec
.LBB15_43:                              ;   in Loop: Header=BB15_50 Depth=3
	s_or_b64 exec, exec, s[54:55]
	s_and_b64 s[56:57], s[56:57], exec
	s_orn2_b64 s[54:55], s[58:59], exec
.LBB15_44:                              ;   in Loop: Header=BB15_50 Depth=3
	s_or_b64 exec, exec, s[52:53]
	s_orn2_b64 s[56:57], s[56:57], exec
	s_orn2_b64 s[52:53], s[54:55], exec
.LBB15_45:                              ;   in Loop: Header=BB15_50 Depth=3
	s_or_b64 exec, exec, s[50:51]
	s_and_b64 s[54:55], s[56:57], exec
	s_orn2_b64 s[50:51], s[52:53], exec
.LBB15_46:                              ;   in Loop: Header=BB15_50 Depth=3
	s_or_b64 exec, exec, s[48:49]
	s_orn2_b64 s[48:49], s[54:55], exec
	s_orn2_b64 s[50:51], s[50:51], exec
.LBB15_47:                              ;   in Loop: Header=BB15_50 Depth=3
	s_or_b64 exec, exec, s[46:47]
	s_and_b64 s[48:49], s[48:49], exec
	s_orn2_b64 s[46:47], s[50:51], exec
.LBB15_48:                              ;   in Loop: Header=BB15_50 Depth=3
	s_or_b64 exec, exec, s[44:45]
	s_andn2_b64 s[40:41], s[40:41], exec
	s_and_b64 s[44:45], s[48:49], exec
	s_or_b64 s[40:41], s[40:41], s[44:45]
	s_andn2_b64 s[38:39], s[38:39], exec
	s_and_b64 s[44:45], s[46:47], exec
	s_or_b64 s[38:39], s[38:39], s[44:45]
.LBB15_49:                              ;   in Loop: Header=BB15_50 Depth=3
	s_or_b64 exec, exec, s[42:43]
	s_and_b64 s[42:43], exec, s[38:39]
	s_or_b64 s[36:37], s[42:43], s[36:37]
	s_andn2_b64 s[34:35], s[34:35], exec
	s_and_b64 s[42:43], s[40:41], exec
	s_or_b64 s[34:35], s[34:35], s[42:43]
	s_andn2_b64 exec, exec, s[36:37]
	s_cbranch_execz .LBB15_59
.LBB15_50:                              ;   Parent Loop BB15_35 Depth=1
                                        ;     Parent Loop BB15_41 Depth=2
                                        ; =>    This Inner Loop Header: Depth=3
	v_and_b32_e32 v14, 63, v15
	v_lshl_add_u32 v20, v14, 2, v5
	ds_read_b32 v20, v20
	s_or_b64 s[40:41], s[40:41], exec
	s_or_b64 s[38:39], s[38:39], exec
	s_waitcnt lgkmcnt(0)
	v_cmp_ne_u32_e32 vcc, -1, v20
	s_and_saveexec_b64 s[42:43], vcc
	s_cbranch_execz .LBB15_49
; %bb.51:                               ;   in Loop: Header=BB15_50 Depth=3
	v_cmp_ne_u32_e32 vcc, v20, v12
	s_mov_b64 s[46:47], -1
	s_mov_b64 s[48:49], 0
	s_and_saveexec_b64 s[44:45], vcc
	s_cbranch_execz .LBB15_48
; %bb.52:                               ;   in Loop: Header=BB15_50 Depth=3
	v_add_u32_e32 v14, 1, v15
	v_and_b32_e32 v14, 63, v14
	v_lshl_add_u32 v20, v14, 2, v5
	ds_read_b32 v20, v20
	s_mov_b64 s[50:51], -1
	s_mov_b64 s[48:49], -1
	s_waitcnt lgkmcnt(0)
	v_cmp_ne_u32_e32 vcc, -1, v20
	s_and_saveexec_b64 s[46:47], vcc
	s_cbranch_execz .LBB15_47
; %bb.53:                               ;   in Loop: Header=BB15_50 Depth=3
	v_cmp_ne_u32_e32 vcc, v20, v12
	s_mov_b64 s[54:55], 0
	s_and_saveexec_b64 s[48:49], vcc
	s_cbranch_execz .LBB15_46
; %bb.54:                               ;   in Loop: Header=BB15_50 Depth=3
	v_add_u32_e32 v14, 2, v15
	v_and_b32_e32 v14, 63, v14
	v_lshl_add_u32 v20, v14, 2, v5
	ds_read_b32 v20, v20
	s_mov_b64 s[52:53], -1
	s_mov_b64 s[56:57], -1
	s_waitcnt lgkmcnt(0)
	v_cmp_ne_u32_e32 vcc, -1, v20
	s_and_saveexec_b64 s[50:51], vcc
	s_cbranch_execz .LBB15_45
; %bb.55:                               ;   in Loop: Header=BB15_50 Depth=3
	v_cmp_ne_u32_e32 vcc, v20, v12
	s_mov_b64 s[54:55], -1
	s_mov_b64 s[56:57], 0
	s_and_saveexec_b64 s[52:53], vcc
	s_cbranch_execz .LBB15_44
; %bb.56:                               ;   in Loop: Header=BB15_50 Depth=3
	v_add_u32_e32 v14, 3, v15
	v_and_b32_e32 v14, 63, v14
	v_lshl_add_u32 v15, v14, 2, v5
	ds_read_b32 v20, v15
	s_mov_b64 s[58:59], -1
	s_mov_b64 s[56:57], -1
                                        ; implicit-def: $vgpr15
	s_waitcnt lgkmcnt(0)
	v_cmp_ne_u32_e32 vcc, -1, v20
	s_and_saveexec_b64 s[54:55], vcc
	s_cbranch_execz .LBB15_43
; %bb.57:                               ;   in Loop: Header=BB15_50 Depth=3
	v_cmp_ne_u32_e32 vcc, v20, v12
	s_mov_b64 s[56:57], 0
                                        ; implicit-def: $vgpr15
	s_and_saveexec_b64 s[60:61], vcc
	s_cbranch_execz .LBB15_42
; %bb.58:                               ;   in Loop: Header=BB15_50 Depth=3
	v_add_u32_e32 v13, -4, v13
	v_cmp_eq_u32_e32 vcc, 0, v13
	s_mov_b64 s[56:57], exec
	v_add_u32_e32 v15, 1, v14
	s_orn2_b64 s[58:59], vcc, exec
	s_branch .LBB15_42
.LBB15_59:                              ;   in Loop: Header=BB15_41 Depth=2
	s_or_b64 exec, exec, s[36:37]
	s_xor_b64 s[34:35], s[34:35], -1
	s_and_saveexec_b64 s[36:37], s[34:35]
	s_xor_b64 s[34:35], exec, s[36:37]
	s_cbranch_execz .LBB15_40
; %bb.60:                               ;   in Loop: Header=BB15_41 Depth=2
	v_lshl_add_u32 v12, v14, 2, v18
	ds_read_b32 v12, v12
	v_lshl_add_u64 v[14:15], v[10:11], 3, s[8:9]
	s_waitcnt lgkmcnt(0)
	v_ashrrev_i32_e32 v13, 31, v12
	v_lshl_add_u64 v[12:13], v[12:13], 3, s[8:9]
	global_load_dwordx2 v[20:21], v[14:15], off
	global_load_dwordx2 v[24:25], v[12:13], off
	s_waitcnt vmcnt(0)
	v_fma_f64 v[14:15], -v[8:9], v[20:21], v[24:25]
	global_store_dwordx2 v[12:13], v[14:15], off
	s_branch .LBB15_40
.LBB15_61:
	s_or_b64 exec, exec, s[2:3]
	v_cmp_lt_i32_e32 vcc, -1, v4
	s_and_saveexec_b64 s[6:7], vcc
	s_cbranch_execz .LBB15_77
; %bb.62:
	v_mov_b32_e32 v5, 0
	v_lshl_add_u64 v[8:9], v[4:5], 3, s[8:9]
	global_load_dwordx2 v[4:5], v[8:9], off
	v_cmp_eq_u32_e64 s[2:3], 0, v16
	s_andn2_b64 vcc, exec, s[30:31]
	s_waitcnt vmcnt(0)
	v_xor_b32_e32 v7, 0x80000000, v5
	v_cmp_gt_f64_e64 s[4:5], 0, v[4:5]
	v_mov_b32_e32 v6, v4
	s_nop 0
	v_cndmask_b32_e64 v7, v5, v7, s[4:5]
	s_mov_b64 s[4:5], -1
	s_cbranch_vccnz .LBB15_66
; %bb.63:
	s_cmp_eq_u64 s[20:21], 8
	v_cvt_f64_f32_e32 v[10:11], v17
	s_cselect_b64 vcc, -1, 0
	v_cndmask_b32_e32 v3, v11, v3, vcc
	v_cndmask_b32_e32 v2, v10, v2, vcc
	v_cmp_le_f64_e32 vcc, v[6:7], v[2:3]
	s_and_b64 s[8:9], s[2:3], vcc
	s_and_saveexec_b64 s[4:5], s[8:9]
	s_cbranch_execz .LBB15_65
; %bb.64:
	global_store_dwordx2 v[8:9], v[22:23], off
	buffer_wbl2 sc1
	s_waitcnt vmcnt(0)
	buffer_inv sc1
.LBB15_65:
	s_or_b64 exec, exec, s[4:5]
	s_mov_b64 s[4:5], 0
.LBB15_66:
	s_andn2_b64 vcc, exec, s[4:5]
	s_cbranch_vccnz .LBB15_77
; %bb.67:
	s_load_dwordx2 s[0:1], s[0:1], 0x48
	v_add_u32_e32 v2, s28, v0
	s_waitcnt lgkmcnt(0)
	v_cmp_ge_f64_e32 vcc, s[0:1], v[6:7]
	s_and_b64 s[4:5], s[2:3], vcc
	s_and_saveexec_b64 s[0:1], s[4:5]
	s_cbranch_execz .LBB15_72
; %bb.68:
	s_mov_b64 s[4:5], exec
	s_brev_b32 s8, -2
.LBB15_69:                              ; =>This Inner Loop Header: Depth=1
	s_ff1_i32_b64 s9, s[4:5]
	v_readlane_b32 s14, v2, s9
	s_lshl_b64 s[10:11], 1, s9
	s_min_i32 s8, s8, s14
	s_andn2_b64 s[4:5], s[4:5], s[10:11]
	s_cmp_lg_u64 s[4:5], 0
	s_cbranch_scc1 .LBB15_69
; %bb.70:
	v_mbcnt_lo_u32_b32 v3, exec_lo, 0
	v_mbcnt_hi_u32_b32 v3, exec_hi, v3
	v_cmp_eq_u32_e32 vcc, 0, v3
	s_and_saveexec_b64 s[4:5], vcc
	s_xor_b64 s[4:5], exec, s[4:5]
	s_cbranch_execz .LBB15_72
; %bb.71:
	v_mov_b32_e32 v3, 0
	v_mov_b32_e32 v6, s8
	global_atomic_smin v3, v6, s[18:19]
.LBB15_72:
	s_or_b64 exec, exec, s[0:1]
	v_cmp_eq_f64_e32 vcc, 0, v[4:5]
	s_and_b64 s[0:1], s[2:3], vcc
	s_and_b64 exec, exec, s[0:1]
	s_cbranch_execz .LBB15_77
; %bb.73:
	s_mov_b64 s[0:1], exec
	s_brev_b32 s2, -2
.LBB15_74:                              ; =>This Inner Loop Header: Depth=1
	s_ff1_i32_b64 s3, s[0:1]
	v_readlane_b32 s8, v2, s3
	s_lshl_b64 s[4:5], 1, s3
	s_min_i32 s2, s2, s8
	s_andn2_b64 s[0:1], s[0:1], s[4:5]
	s_cmp_lg_u64 s[0:1], 0
	s_cbranch_scc1 .LBB15_74
; %bb.75:
	v_mbcnt_lo_u32_b32 v2, exec_lo, 0
	v_mbcnt_hi_u32_b32 v2, exec_hi, v2
	v_cmp_eq_u32_e32 vcc, 0, v2
	s_and_saveexec_b64 s[0:1], vcc
	s_xor_b64 s[0:1], exec, s[0:1]
	s_cbranch_execz .LBB15_77
; %bb.76:
	v_mov_b32_e32 v2, 0
	v_mov_b32_e32 v3, s2
	global_atomic_smin v2, v3, s[16:17]
.LBB15_77:
	s_or_b64 exec, exec, s[6:7]
	v_cmp_eq_u32_e32 vcc, 0, v16
	buffer_wbl2 sc1
	s_waitcnt vmcnt(0)
	buffer_inv sc1
	s_and_b64 exec, exec, vcc
	s_cbranch_execz .LBB15_79
; %bb.78:
	v_lshl_add_u64 v[0:1], v[0:1], 2, s[12:13]
	v_mov_b32_e32 v2, 1
	buffer_wbl2 sc1
	global_store_dword v[0:1], v2, off sc1
.LBB15_79:
	s_endpgm
	.section	.rodata,"a",@progbits
	.p2align	6, 0x0
	.amdhsa_kernel _ZN9rocsparseL12csrilu0_hashILj256ELj32ELj2EdEEviPKiS2_PT2_S2_PiS2_S5_S5_d21rocsparse_index_base_imNS_24const_host_device_scalarIfEENS7_IdEENS7_IS3_EEb
		.amdhsa_group_segment_fixed_size 4096
		.amdhsa_private_segment_fixed_size 0
		.amdhsa_kernarg_size 124
		.amdhsa_user_sgpr_count 2
		.amdhsa_user_sgpr_dispatch_ptr 0
		.amdhsa_user_sgpr_queue_ptr 0
		.amdhsa_user_sgpr_kernarg_segment_ptr 1
		.amdhsa_user_sgpr_dispatch_id 0
		.amdhsa_user_sgpr_kernarg_preload_length 0
		.amdhsa_user_sgpr_kernarg_preload_offset 0
		.amdhsa_user_sgpr_private_segment_size 0
		.amdhsa_uses_dynamic_stack 0
		.amdhsa_enable_private_segment 0
		.amdhsa_system_sgpr_workgroup_id_x 1
		.amdhsa_system_sgpr_workgroup_id_y 0
		.amdhsa_system_sgpr_workgroup_id_z 0
		.amdhsa_system_sgpr_workgroup_info 0
		.amdhsa_system_vgpr_workitem_id 0
		.amdhsa_next_free_vgpr 30
		.amdhsa_next_free_sgpr 62
		.amdhsa_accum_offset 32
		.amdhsa_reserve_vcc 1
		.amdhsa_float_round_mode_32 0
		.amdhsa_float_round_mode_16_64 0
		.amdhsa_float_denorm_mode_32 3
		.amdhsa_float_denorm_mode_16_64 3
		.amdhsa_dx10_clamp 1
		.amdhsa_ieee_mode 1
		.amdhsa_fp16_overflow 0
		.amdhsa_tg_split 0
		.amdhsa_exception_fp_ieee_invalid_op 0
		.amdhsa_exception_fp_denorm_src 0
		.amdhsa_exception_fp_ieee_div_zero 0
		.amdhsa_exception_fp_ieee_overflow 0
		.amdhsa_exception_fp_ieee_underflow 0
		.amdhsa_exception_fp_ieee_inexact 0
		.amdhsa_exception_int_div_zero 0
	.end_amdhsa_kernel
	.section	.text._ZN9rocsparseL12csrilu0_hashILj256ELj32ELj2EdEEviPKiS2_PT2_S2_PiS2_S5_S5_d21rocsparse_index_base_imNS_24const_host_device_scalarIfEENS7_IdEENS7_IS3_EEb,"axG",@progbits,_ZN9rocsparseL12csrilu0_hashILj256ELj32ELj2EdEEviPKiS2_PT2_S2_PiS2_S5_S5_d21rocsparse_index_base_imNS_24const_host_device_scalarIfEENS7_IdEENS7_IS3_EEb,comdat
.Lfunc_end15:
	.size	_ZN9rocsparseL12csrilu0_hashILj256ELj32ELj2EdEEviPKiS2_PT2_S2_PiS2_S5_S5_d21rocsparse_index_base_imNS_24const_host_device_scalarIfEENS7_IdEENS7_IS3_EEb, .Lfunc_end15-_ZN9rocsparseL12csrilu0_hashILj256ELj32ELj2EdEEviPKiS2_PT2_S2_PiS2_S5_S5_d21rocsparse_index_base_imNS_24const_host_device_scalarIfEENS7_IdEENS7_IS3_EEb
                                        ; -- End function
	.set _ZN9rocsparseL12csrilu0_hashILj256ELj32ELj2EdEEviPKiS2_PT2_S2_PiS2_S5_S5_d21rocsparse_index_base_imNS_24const_host_device_scalarIfEENS7_IdEENS7_IS3_EEb.num_vgpr, 30
	.set _ZN9rocsparseL12csrilu0_hashILj256ELj32ELj2EdEEviPKiS2_PT2_S2_PiS2_S5_S5_d21rocsparse_index_base_imNS_24const_host_device_scalarIfEENS7_IdEENS7_IS3_EEb.num_agpr, 0
	.set _ZN9rocsparseL12csrilu0_hashILj256ELj32ELj2EdEEviPKiS2_PT2_S2_PiS2_S5_S5_d21rocsparse_index_base_imNS_24const_host_device_scalarIfEENS7_IdEENS7_IS3_EEb.numbered_sgpr, 62
	.set _ZN9rocsparseL12csrilu0_hashILj256ELj32ELj2EdEEviPKiS2_PT2_S2_PiS2_S5_S5_d21rocsparse_index_base_imNS_24const_host_device_scalarIfEENS7_IdEENS7_IS3_EEb.num_named_barrier, 0
	.set _ZN9rocsparseL12csrilu0_hashILj256ELj32ELj2EdEEviPKiS2_PT2_S2_PiS2_S5_S5_d21rocsparse_index_base_imNS_24const_host_device_scalarIfEENS7_IdEENS7_IS3_EEb.private_seg_size, 0
	.set _ZN9rocsparseL12csrilu0_hashILj256ELj32ELj2EdEEviPKiS2_PT2_S2_PiS2_S5_S5_d21rocsparse_index_base_imNS_24const_host_device_scalarIfEENS7_IdEENS7_IS3_EEb.uses_vcc, 1
	.set _ZN9rocsparseL12csrilu0_hashILj256ELj32ELj2EdEEviPKiS2_PT2_S2_PiS2_S5_S5_d21rocsparse_index_base_imNS_24const_host_device_scalarIfEENS7_IdEENS7_IS3_EEb.uses_flat_scratch, 0
	.set _ZN9rocsparseL12csrilu0_hashILj256ELj32ELj2EdEEviPKiS2_PT2_S2_PiS2_S5_S5_d21rocsparse_index_base_imNS_24const_host_device_scalarIfEENS7_IdEENS7_IS3_EEb.has_dyn_sized_stack, 0
	.set _ZN9rocsparseL12csrilu0_hashILj256ELj32ELj2EdEEviPKiS2_PT2_S2_PiS2_S5_S5_d21rocsparse_index_base_imNS_24const_host_device_scalarIfEENS7_IdEENS7_IS3_EEb.has_recursion, 0
	.set _ZN9rocsparseL12csrilu0_hashILj256ELj32ELj2EdEEviPKiS2_PT2_S2_PiS2_S5_S5_d21rocsparse_index_base_imNS_24const_host_device_scalarIfEENS7_IdEENS7_IS3_EEb.has_indirect_call, 0
	.section	.AMDGPU.csdata,"",@progbits
; Kernel info:
; codeLenInByte = 2408
; TotalNumSgprs: 68
; NumVgprs: 30
; NumAgprs: 0
; TotalNumVgprs: 30
; ScratchSize: 0
; MemoryBound: 0
; FloatMode: 240
; IeeeMode: 1
; LDSByteSize: 4096 bytes/workgroup (compile time only)
; SGPRBlocks: 8
; VGPRBlocks: 3
; NumSGPRsForWavesPerEU: 68
; NumVGPRsForWavesPerEU: 30
; AccumOffset: 32
; Occupancy: 8
; WaveLimiterHint : 1
; COMPUTE_PGM_RSRC2:SCRATCH_EN: 0
; COMPUTE_PGM_RSRC2:USER_SGPR: 2
; COMPUTE_PGM_RSRC2:TRAP_HANDLER: 0
; COMPUTE_PGM_RSRC2:TGID_X_EN: 1
; COMPUTE_PGM_RSRC2:TGID_Y_EN: 0
; COMPUTE_PGM_RSRC2:TGID_Z_EN: 0
; COMPUTE_PGM_RSRC2:TIDIG_COMP_CNT: 0
; COMPUTE_PGM_RSRC3_GFX90A:ACCUM_OFFSET: 7
; COMPUTE_PGM_RSRC3_GFX90A:TG_SPLIT: 0
	.section	.text._ZN9rocsparseL12csrilu0_hashILj256ELj32ELj4EdEEviPKiS2_PT2_S2_PiS2_S5_S5_d21rocsparse_index_base_imNS_24const_host_device_scalarIfEENS7_IdEENS7_IS3_EEb,"axG",@progbits,_ZN9rocsparseL12csrilu0_hashILj256ELj32ELj4EdEEviPKiS2_PT2_S2_PiS2_S5_S5_d21rocsparse_index_base_imNS_24const_host_device_scalarIfEENS7_IdEENS7_IS3_EEb,comdat
	.globl	_ZN9rocsparseL12csrilu0_hashILj256ELj32ELj4EdEEviPKiS2_PT2_S2_PiS2_S5_S5_d21rocsparse_index_base_imNS_24const_host_device_scalarIfEENS7_IdEENS7_IS3_EEb ; -- Begin function _ZN9rocsparseL12csrilu0_hashILj256ELj32ELj4EdEEviPKiS2_PT2_S2_PiS2_S5_S5_d21rocsparse_index_base_imNS_24const_host_device_scalarIfEENS7_IdEENS7_IS3_EEb
	.p2align	8
	.type	_ZN9rocsparseL12csrilu0_hashILj256ELj32ELj4EdEEviPKiS2_PT2_S2_PiS2_S5_S5_d21rocsparse_index_base_imNS_24const_host_device_scalarIfEENS7_IdEENS7_IS3_EEb,@function
_ZN9rocsparseL12csrilu0_hashILj256ELj32ELj4EdEEviPKiS2_PT2_S2_PiS2_S5_S5_d21rocsparse_index_base_imNS_24const_host_device_scalarIfEENS7_IdEENS7_IS3_EEb: ; @_ZN9rocsparseL12csrilu0_hashILj256ELj32ELj4EdEEviPKiS2_PT2_S2_PiS2_S5_S5_d21rocsparse_index_base_imNS_24const_host_device_scalarIfEENS7_IdEENS7_IS3_EEb
; %bb.0:
	s_load_dword s3, s[0:1], 0x78
	s_load_dwordx2 s[28:29], s[0:1], 0x50
	s_load_dwordx8 s[20:27], s[0:1], 0x58
	s_waitcnt lgkmcnt(0)
	s_bitcmp1_b32 s3, 0
	s_cselect_b64 s[4:5], -1, 0
	s_cmp_eq_u32 s29, 0
	s_cselect_b64 s[6:7], -1, 0
	s_cmp_lg_u32 s29, 0
	s_cselect_b64 s[30:31], -1, 0
	s_or_b64 s[4:5], s[6:7], s[4:5]
	s_xor_b64 s[8:9], s[4:5], -1
	s_and_b64 s[10:11], s[6:7], exec
	s_cselect_b32 s11, 0, s25
	s_cselect_b32 s10, 0, s24
	s_and_b64 vcc, exec, s[4:5]
	s_cbranch_vccnz .LBB16_2
; %bb.1:
	s_load_dword s3, s[22:23], 0x0
	s_mov_b64 s[10:11], s[24:25]
	s_waitcnt lgkmcnt(0)
	v_mov_b32_e32 v17, s3
	s_branch .LBB16_3
.LBB16_2:
	v_mov_b32_e32 v1, s22
	v_cndmask_b32_e64 v17, v1, 0, s[6:7]
.LBB16_3:
	v_cndmask_b32_e64 v1, 0, 1, s[8:9]
	v_cmp_ne_u32_e64 s[4:5], 1, v1
	s_andn2_b64 vcc, exec, s[8:9]
	v_mov_b64_e32 v[2:3], s[10:11]
	s_cbranch_vccnz .LBB16_5
; %bb.4:
	v_mov_b64_e32 v[2:3], s[24:25]
	flat_load_dwordx2 v[2:3], v[2:3]
.LBB16_5:
	s_and_b64 s[6:7], s[6:7], exec
	s_cselect_b32 s7, 0, s27
	s_cselect_b32 s6, 0, s26
	s_and_b64 vcc, exec, s[4:5]
	v_mov_b64_e32 v[22:23], s[6:7]
	s_cbranch_vccnz .LBB16_7
; %bb.6:
	v_mov_b64_e32 v[4:5], s[26:27]
	flat_load_dwordx2 v[22:23], v[4:5]
.LBB16_7:
	s_load_dword s3, s[0:1], 0x0
	v_lshlrev_b32_e32 v1, 2, v0
	s_lshl_b32 s2, s2, 3
	v_and_b32_e32 v16, 31, v0
	v_and_b32_e32 v6, 0x380, v1
	v_mov_b32_e32 v1, 0x1000
	v_lshrrev_b32_e32 v0, 5, v0
	s_and_b32 s2, s2, 0x7fffff8
	v_lshl_or_b32 v5, v6, 2, v1
	v_or_b32_e32 v0, s2, v0
	v_lshl_or_b32 v1, v16, 2, v5
	v_mov_b32_e32 v4, -1
	s_waitcnt lgkmcnt(0)
	v_cmp_gt_i32_e32 vcc, s3, v0
	ds_write2_b32 v1, v4, v4 offset1:32
	ds_write2_b32 v1, v4, v4 offset0:64 offset1:96
	s_waitcnt lgkmcnt(0)
	s_and_saveexec_b64 s[2:3], vcc
	s_cbranch_execz .LBB16_79
; %bb.8:
	s_load_dwordx16 s[4:19], s[0:1], 0x8
	v_lshlrev_b32_e32 v0, 2, v0
	v_lshlrev_b32_e32 v18, 2, v6
	s_waitcnt lgkmcnt(0)
	global_load_dword v0, v0, s[14:15]
	s_waitcnt vmcnt(0)
	v_ashrrev_i32_e32 v1, 31, v0
	v_lshlrev_b64 v[8:9], 2, v[0:1]
	v_lshl_add_u64 v[10:11], s[4:5], 0, v[8:9]
	global_load_dwordx2 v[10:11], v[10:11], off
	v_lshl_add_u64 v[8:9], s[10:11], 0, v[8:9]
	global_load_dword v4, v[8:9], off
	s_waitcnt vmcnt(1)
	v_subrev_u32_e32 v6, s28, v10
	v_subrev_u32_e32 v7, s28, v11
	v_add_u32_e32 v8, v6, v16
	v_cmp_lt_i32_e32 vcc, v8, v7
	s_and_saveexec_b64 s[2:3], vcc
	s_cbranch_execz .LBB16_31
; %bb.9:
	s_mov_b64 s[14:15], 0
	s_movk_i32 s29, 0x67
	v_mov_b32_e32 v10, -1
	s_branch .LBB16_11
.LBB16_10:                              ;   in Loop: Header=BB16_11 Depth=1
	s_or_b64 exec, exec, s[22:23]
	v_add_u32_e32 v8, 32, v8
	v_cmp_ge_i32_e32 vcc, v8, v7
	s_or_b64 s[14:15], vcc, s[14:15]
	s_andn2_b64 exec, exec, s[14:15]
	s_cbranch_execz .LBB16_31
.LBB16_11:                              ; =>This Loop Header: Depth=1
                                        ;     Child Loop BB16_20 Depth 2
	v_ashrrev_i32_e32 v9, 31, v8
	v_lshl_add_u64 v[12:13], v[8:9], 2, s[6:7]
	global_load_dword v9, v[12:13], off
	v_mov_b32_e32 v11, 0x80
	s_mov_b64 s[24:25], 0
                                        ; implicit-def: $sgpr22_sgpr23
                                        ; implicit-def: $sgpr26_sgpr27
                                        ; implicit-def: $sgpr34_sgpr35
	s_waitcnt vmcnt(0)
	v_mul_lo_u32 v13, v9, s29
	s_branch .LBB16_20
.LBB16_12:                              ;   in Loop: Header=BB16_20 Depth=2
	s_or_b64 exec, exec, s[54:55]
	s_orn2_b64 s[50:51], s[50:51], exec
	s_orn2_b64 s[52:53], s[52:53], exec
.LBB16_13:                              ;   in Loop: Header=BB16_20 Depth=2
	s_or_b64 exec, exec, s[48:49]
	s_and_b64 s[50:51], s[50:51], exec
	s_orn2_b64 s[48:49], s[52:53], exec
.LBB16_14:                              ;   in Loop: Header=BB16_20 Depth=2
	s_or_b64 exec, exec, s[46:47]
	s_orn2_b64 s[50:51], s[50:51], exec
	s_orn2_b64 s[46:47], s[48:49], exec
.LBB16_15:                              ;   in Loop: Header=BB16_20 Depth=2
	s_or_b64 exec, exec, s[44:45]
	s_and_b64 s[48:49], s[50:51], exec
	s_orn2_b64 s[44:45], s[46:47], exec
.LBB16_16:                              ;   in Loop: Header=BB16_20 Depth=2
	s_or_b64 exec, exec, s[42:43]
	s_orn2_b64 s[42:43], s[48:49], exec
	s_orn2_b64 s[44:45], s[44:45], exec
.LBB16_17:                              ;   in Loop: Header=BB16_20 Depth=2
	s_or_b64 exec, exec, s[40:41]
	s_and_b64 s[42:43], s[42:43], exec
	s_orn2_b64 s[40:41], s[44:45], exec
.LBB16_18:                              ;   in Loop: Header=BB16_20 Depth=2
	s_or_b64 exec, exec, s[38:39]
	s_andn2_b64 s[34:35], s[34:35], exec
	s_and_b64 s[38:39], s[42:43], exec
	s_or_b64 s[34:35], s[34:35], s[38:39]
	s_andn2_b64 s[26:27], s[26:27], exec
	s_and_b64 s[38:39], s[40:41], exec
	s_or_b64 s[26:27], s[26:27], s[38:39]
.LBB16_19:                              ;   in Loop: Header=BB16_20 Depth=2
	s_or_b64 exec, exec, s[36:37]
	s_and_b64 s[36:37], exec, s[26:27]
	s_or_b64 s[24:25], s[36:37], s[24:25]
	s_andn2_b64 s[22:23], s[22:23], exec
	s_and_b64 s[36:37], s[34:35], exec
	s_or_b64 s[22:23], s[22:23], s[36:37]
	s_andn2_b64 exec, exec, s[24:25]
	s_cbranch_execz .LBB16_29
.LBB16_20:                              ;   Parent Loop BB16_11 Depth=1
                                        ; =>  This Inner Loop Header: Depth=2
	v_and_b32_e32 v12, 0x7f, v13
	v_lshl_add_u32 v14, v12, 2, v5
	ds_read_b32 v15, v14
	s_or_b64 s[34:35], s[34:35], exec
	s_or_b64 s[26:27], s[26:27], exec
	s_waitcnt lgkmcnt(0)
	v_cmp_ne_u32_e32 vcc, v15, v9
	s_and_saveexec_b64 s[36:37], vcc
	s_cbranch_execz .LBB16_19
; %bb.21:                               ;   in Loop: Header=BB16_20 Depth=2
	ds_cmpst_rtn_b32 v14, v14, v10, v9
	s_mov_b64 s[40:41], -1
	s_mov_b64 s[42:43], 0
	s_waitcnt lgkmcnt(0)
	v_cmp_ne_u32_e32 vcc, -1, v14
	s_and_saveexec_b64 s[38:39], vcc
	s_cbranch_execz .LBB16_18
; %bb.22:                               ;   in Loop: Header=BB16_20 Depth=2
	v_add_u32_e32 v12, 1, v13
	v_and_b32_e32 v12, 0x7f, v12
	v_lshl_add_u32 v14, v12, 2, v5
	ds_read_b32 v15, v14
	s_mov_b64 s[44:45], -1
	s_mov_b64 s[42:43], -1
	s_waitcnt lgkmcnt(0)
	v_cmp_ne_u32_e32 vcc, v15, v9
	s_and_saveexec_b64 s[40:41], vcc
	s_cbranch_execz .LBB16_17
; %bb.23:                               ;   in Loop: Header=BB16_20 Depth=2
	ds_cmpst_rtn_b32 v14, v14, v10, v9
	s_mov_b64 s[48:49], 0
	s_waitcnt lgkmcnt(0)
	v_cmp_ne_u32_e32 vcc, -1, v14
	s_and_saveexec_b64 s[42:43], vcc
	s_cbranch_execz .LBB16_16
; %bb.24:                               ;   in Loop: Header=BB16_20 Depth=2
	v_add_u32_e32 v12, 2, v13
	v_and_b32_e32 v12, 0x7f, v12
	v_lshl_add_u32 v14, v12, 2, v5
	ds_read_b32 v15, v14
	s_mov_b64 s[46:47], -1
	s_mov_b64 s[50:51], -1
	s_waitcnt lgkmcnt(0)
	v_cmp_ne_u32_e32 vcc, v15, v9
	s_and_saveexec_b64 s[44:45], vcc
	s_cbranch_execz .LBB16_15
; %bb.25:                               ;   in Loop: Header=BB16_20 Depth=2
	ds_cmpst_rtn_b32 v14, v14, v10, v9
	s_mov_b64 s[48:49], -1
	s_mov_b64 s[50:51], 0
	s_waitcnt lgkmcnt(0)
	v_cmp_ne_u32_e32 vcc, -1, v14
	s_and_saveexec_b64 s[46:47], vcc
	s_cbranch_execz .LBB16_14
; %bb.26:                               ;   in Loop: Header=BB16_20 Depth=2
	v_add_u32_e32 v12, 3, v13
	v_and_b32_e32 v12, 0x7f, v12
	v_lshl_add_u32 v14, v12, 2, v5
	ds_read_b32 v13, v14
	s_mov_b64 s[52:53], -1
	s_mov_b64 s[50:51], -1
	s_waitcnt lgkmcnt(0)
	v_cmp_ne_u32_e32 vcc, v13, v9
                                        ; implicit-def: $vgpr13
	s_and_saveexec_b64 s[48:49], vcc
	s_cbranch_execz .LBB16_13
; %bb.27:                               ;   in Loop: Header=BB16_20 Depth=2
	ds_cmpst_rtn_b32 v13, v14, v10, v9
	s_mov_b64 s[50:51], 0
	s_waitcnt lgkmcnt(0)
	v_cmp_ne_u32_e32 vcc, -1, v13
                                        ; implicit-def: $vgpr13
	s_and_saveexec_b64 s[54:55], vcc
	s_cbranch_execz .LBB16_12
; %bb.28:                               ;   in Loop: Header=BB16_20 Depth=2
	v_add_u32_e32 v11, -4, v11
	v_cmp_eq_u32_e32 vcc, 0, v11
	s_mov_b64 s[50:51], exec
	v_add_u32_e32 v13, 1, v12
	s_orn2_b64 s[52:53], vcc, exec
	s_branch .LBB16_12
.LBB16_29:                              ;   in Loop: Header=BB16_11 Depth=1
	s_or_b64 exec, exec, s[24:25]
	s_xor_b64 s[22:23], s[22:23], -1
	s_and_saveexec_b64 s[24:25], s[22:23]
	s_xor_b64 s[22:23], exec, s[24:25]
	s_cbranch_execz .LBB16_10
; %bb.30:                               ;   in Loop: Header=BB16_11 Depth=1
	v_lshl_add_u32 v9, v12, 2, v18
	ds_write_b32 v9, v8
	s_branch .LBB16_10
.LBB16_31:
	s_or_b64 exec, exec, s[2:3]
	s_waitcnt vmcnt(0)
	v_cmp_lt_i32_e32 vcc, v6, v4
	s_waitcnt lgkmcnt(0)
	s_and_saveexec_b64 s[2:3], vcc
	s_cbranch_execz .LBB16_61
; %bb.32:
	v_add_u32_e32 v19, 1, v16
	s_mov_b64 s[14:15], 0
	s_movk_i32 s29, 0x67
	s_branch .LBB16_35
.LBB16_33:                              ;   in Loop: Header=BB16_35 Depth=1
	s_or_b64 exec, exec, s[24:25]
	v_add_u32_e32 v6, 1, v6
	v_cmp_ge_i32_e32 vcc, v6, v4
	s_orn2_b64 s[24:25], vcc, exec
.LBB16_34:                              ;   in Loop: Header=BB16_35 Depth=1
	s_or_b64 exec, exec, s[22:23]
	s_and_b64 s[22:23], exec, s[24:25]
	s_or_b64 s[14:15], s[22:23], s[14:15]
	s_andn2_b64 exec, exec, s[14:15]
	s_cbranch_execz .LBB16_61
.LBB16_35:                              ; =>This Loop Header: Depth=1
                                        ;     Child Loop BB16_36 Depth 2
                                        ;     Child Loop BB16_41 Depth 2
                                        ;       Child Loop BB16_50 Depth 3
	v_ashrrev_i32_e32 v7, 31, v6
	v_lshl_add_u64 v[8:9], v[6:7], 2, s[6:7]
	global_load_dword v12, v[8:9], off
	v_lshl_add_u64 v[10:11], v[6:7], 3, s[8:9]
	global_load_dwordx2 v[8:9], v[10:11], off
	s_mov_b64 s[22:23], 0
	s_waitcnt vmcnt(1)
	v_subrev_u32_e32 v12, s28, v12
	v_ashrrev_i32_e32 v13, 31, v12
	v_lshlrev_b64 v[12:13], 2, v[12:13]
	v_lshl_add_u64 v[20:21], s[4:5], 0, v[12:13]
	v_lshl_add_u64 v[24:25], s[10:11], 0, v[12:13]
	global_load_dword v7, v[20:21], off offset:4
	global_load_dword v14, v[24:25], off
	v_lshl_add_u64 v[12:13], s[12:13], 0, v[12:13]
.LBB16_36:                              ;   Parent Loop BB16_35 Depth=1
                                        ; =>  This Inner Loop Header: Depth=2
	global_load_dword v15, v[12:13], off sc1
	s_waitcnt vmcnt(0)
	v_cmp_ne_u32_e32 vcc, 0, v15
	s_or_b64 s[22:23], vcc, s[22:23]
	s_andn2_b64 exec, exec, s[22:23]
	s_cbranch_execnz .LBB16_36
; %bb.37:                               ;   in Loop: Header=BB16_35 Depth=1
	s_or_b64 exec, exec, s[22:23]
	v_subrev_u32_e32 v7, s28, v7
	v_add_u32_e32 v12, -1, v7
	v_cmp_eq_u32_e32 vcc, -1, v14
	buffer_inv sc1
	s_mov_b64 s[24:25], -1
	v_cndmask_b32_e32 v12, v14, v12, vcc
	v_ashrrev_i32_e32 v13, 31, v12
	v_lshl_add_u64 v[14:15], v[12:13], 3, s[8:9]
	global_load_dwordx2 v[14:15], v[14:15], off
	s_waitcnt vmcnt(0)
	v_cmp_neq_f64_e32 vcc, 0, v[14:15]
	s_and_saveexec_b64 s[22:23], vcc
	s_cbranch_execz .LBB16_34
; %bb.38:                               ;   in Loop: Header=BB16_35 Depth=1
	v_div_scale_f64 v[20:21], s[24:25], v[14:15], v[14:15], v[8:9]
	v_rcp_f64_e32 v[24:25], v[20:21]
	v_div_scale_f64 v[26:27], vcc, v[8:9], v[14:15], v[8:9]
	v_fma_f64 v[28:29], -v[20:21], v[24:25], 1.0
	v_fmac_f64_e32 v[24:25], v[24:25], v[28:29]
	v_fma_f64 v[28:29], -v[20:21], v[24:25], 1.0
	v_fmac_f64_e32 v[24:25], v[24:25], v[28:29]
	v_mul_f64 v[28:29], v[26:27], v[24:25]
	v_fma_f64 v[20:21], -v[20:21], v[28:29], v[26:27]
	v_div_fmas_f64 v[20:21], v[20:21], v[24:25], v[28:29]
	v_div_fixup_f64 v[8:9], v[20:21], v[14:15], v[8:9]
	global_store_dwordx2 v[10:11], v[8:9], off
	v_add_u32_e32 v10, v19, v12
	v_cmp_lt_i32_e32 vcc, v10, v7
	s_and_saveexec_b64 s[24:25], vcc
	s_cbranch_execz .LBB16_33
; %bb.39:                               ;   in Loop: Header=BB16_35 Depth=1
	s_mov_b64 s[26:27], 0
	s_branch .LBB16_41
.LBB16_40:                              ;   in Loop: Header=BB16_41 Depth=2
	s_or_b64 exec, exec, s[34:35]
	v_add_u32_e32 v10, 32, v10
	v_cmp_ge_i32_e32 vcc, v10, v7
	s_or_b64 s[26:27], vcc, s[26:27]
	s_andn2_b64 exec, exec, s[26:27]
	s_cbranch_execz .LBB16_33
.LBB16_41:                              ;   Parent Loop BB16_35 Depth=1
                                        ; =>  This Loop Header: Depth=2
                                        ;       Child Loop BB16_50 Depth 3
	v_ashrrev_i32_e32 v11, 31, v10
	v_lshl_add_u64 v[12:13], v[10:11], 2, s[6:7]
	global_load_dword v12, v[12:13], off
	v_mov_b32_e32 v13, 0x80
	s_mov_b64 s[36:37], 0
                                        ; implicit-def: $sgpr34_sgpr35
                                        ; implicit-def: $sgpr38_sgpr39
                                        ; implicit-def: $sgpr40_sgpr41
	s_waitcnt vmcnt(0)
	v_mul_lo_u32 v15, v12, s29
	s_branch .LBB16_50
.LBB16_42:                              ;   in Loop: Header=BB16_50 Depth=3
	s_or_b64 exec, exec, s[60:61]
	s_orn2_b64 s[56:57], s[56:57], exec
	s_orn2_b64 s[58:59], s[58:59], exec
.LBB16_43:                              ;   in Loop: Header=BB16_50 Depth=3
	s_or_b64 exec, exec, s[54:55]
	s_and_b64 s[56:57], s[56:57], exec
	s_orn2_b64 s[54:55], s[58:59], exec
.LBB16_44:                              ;   in Loop: Header=BB16_50 Depth=3
	s_or_b64 exec, exec, s[52:53]
	s_orn2_b64 s[56:57], s[56:57], exec
	s_orn2_b64 s[52:53], s[54:55], exec
.LBB16_45:                              ;   in Loop: Header=BB16_50 Depth=3
	s_or_b64 exec, exec, s[50:51]
	s_and_b64 s[54:55], s[56:57], exec
	s_orn2_b64 s[50:51], s[52:53], exec
.LBB16_46:                              ;   in Loop: Header=BB16_50 Depth=3
	s_or_b64 exec, exec, s[48:49]
	s_orn2_b64 s[48:49], s[54:55], exec
	s_orn2_b64 s[50:51], s[50:51], exec
.LBB16_47:                              ;   in Loop: Header=BB16_50 Depth=3
	s_or_b64 exec, exec, s[46:47]
	s_and_b64 s[48:49], s[48:49], exec
	s_orn2_b64 s[46:47], s[50:51], exec
.LBB16_48:                              ;   in Loop: Header=BB16_50 Depth=3
	s_or_b64 exec, exec, s[44:45]
	s_andn2_b64 s[40:41], s[40:41], exec
	s_and_b64 s[44:45], s[48:49], exec
	s_or_b64 s[40:41], s[40:41], s[44:45]
	s_andn2_b64 s[38:39], s[38:39], exec
	s_and_b64 s[44:45], s[46:47], exec
	s_or_b64 s[38:39], s[38:39], s[44:45]
.LBB16_49:                              ;   in Loop: Header=BB16_50 Depth=3
	s_or_b64 exec, exec, s[42:43]
	s_and_b64 s[42:43], exec, s[38:39]
	s_or_b64 s[36:37], s[42:43], s[36:37]
	s_andn2_b64 s[34:35], s[34:35], exec
	s_and_b64 s[42:43], s[40:41], exec
	s_or_b64 s[34:35], s[34:35], s[42:43]
	s_andn2_b64 exec, exec, s[36:37]
	s_cbranch_execz .LBB16_59
.LBB16_50:                              ;   Parent Loop BB16_35 Depth=1
                                        ;     Parent Loop BB16_41 Depth=2
                                        ; =>    This Inner Loop Header: Depth=3
	v_and_b32_e32 v14, 0x7f, v15
	v_lshl_add_u32 v20, v14, 2, v5
	ds_read_b32 v20, v20
	s_or_b64 s[40:41], s[40:41], exec
	s_or_b64 s[38:39], s[38:39], exec
	s_waitcnt lgkmcnt(0)
	v_cmp_ne_u32_e32 vcc, -1, v20
	s_and_saveexec_b64 s[42:43], vcc
	s_cbranch_execz .LBB16_49
; %bb.51:                               ;   in Loop: Header=BB16_50 Depth=3
	v_cmp_ne_u32_e32 vcc, v20, v12
	s_mov_b64 s[46:47], -1
	s_mov_b64 s[48:49], 0
	s_and_saveexec_b64 s[44:45], vcc
	s_cbranch_execz .LBB16_48
; %bb.52:                               ;   in Loop: Header=BB16_50 Depth=3
	v_add_u32_e32 v14, 1, v15
	v_and_b32_e32 v14, 0x7f, v14
	v_lshl_add_u32 v20, v14, 2, v5
	ds_read_b32 v20, v20
	s_mov_b64 s[50:51], -1
	s_mov_b64 s[48:49], -1
	s_waitcnt lgkmcnt(0)
	v_cmp_ne_u32_e32 vcc, -1, v20
	s_and_saveexec_b64 s[46:47], vcc
	s_cbranch_execz .LBB16_47
; %bb.53:                               ;   in Loop: Header=BB16_50 Depth=3
	v_cmp_ne_u32_e32 vcc, v20, v12
	s_mov_b64 s[54:55], 0
	s_and_saveexec_b64 s[48:49], vcc
	s_cbranch_execz .LBB16_46
; %bb.54:                               ;   in Loop: Header=BB16_50 Depth=3
	v_add_u32_e32 v14, 2, v15
	v_and_b32_e32 v14, 0x7f, v14
	v_lshl_add_u32 v20, v14, 2, v5
	ds_read_b32 v20, v20
	s_mov_b64 s[52:53], -1
	s_mov_b64 s[56:57], -1
	s_waitcnt lgkmcnt(0)
	v_cmp_ne_u32_e32 vcc, -1, v20
	s_and_saveexec_b64 s[50:51], vcc
	s_cbranch_execz .LBB16_45
; %bb.55:                               ;   in Loop: Header=BB16_50 Depth=3
	v_cmp_ne_u32_e32 vcc, v20, v12
	s_mov_b64 s[54:55], -1
	s_mov_b64 s[56:57], 0
	s_and_saveexec_b64 s[52:53], vcc
	s_cbranch_execz .LBB16_44
; %bb.56:                               ;   in Loop: Header=BB16_50 Depth=3
	v_add_u32_e32 v14, 3, v15
	v_and_b32_e32 v14, 0x7f, v14
	v_lshl_add_u32 v15, v14, 2, v5
	ds_read_b32 v20, v15
	s_mov_b64 s[58:59], -1
	s_mov_b64 s[56:57], -1
                                        ; implicit-def: $vgpr15
	s_waitcnt lgkmcnt(0)
	v_cmp_ne_u32_e32 vcc, -1, v20
	s_and_saveexec_b64 s[54:55], vcc
	s_cbranch_execz .LBB16_43
; %bb.57:                               ;   in Loop: Header=BB16_50 Depth=3
	v_cmp_ne_u32_e32 vcc, v20, v12
	s_mov_b64 s[56:57], 0
                                        ; implicit-def: $vgpr15
	s_and_saveexec_b64 s[60:61], vcc
	s_cbranch_execz .LBB16_42
; %bb.58:                               ;   in Loop: Header=BB16_50 Depth=3
	v_add_u32_e32 v13, -4, v13
	v_cmp_eq_u32_e32 vcc, 0, v13
	s_mov_b64 s[56:57], exec
	v_add_u32_e32 v15, 1, v14
	s_orn2_b64 s[58:59], vcc, exec
	s_branch .LBB16_42
.LBB16_59:                              ;   in Loop: Header=BB16_41 Depth=2
	s_or_b64 exec, exec, s[36:37]
	s_xor_b64 s[34:35], s[34:35], -1
	s_and_saveexec_b64 s[36:37], s[34:35]
	s_xor_b64 s[34:35], exec, s[36:37]
	s_cbranch_execz .LBB16_40
; %bb.60:                               ;   in Loop: Header=BB16_41 Depth=2
	v_lshl_add_u32 v12, v14, 2, v18
	ds_read_b32 v12, v12
	v_lshl_add_u64 v[14:15], v[10:11], 3, s[8:9]
	s_waitcnt lgkmcnt(0)
	v_ashrrev_i32_e32 v13, 31, v12
	v_lshl_add_u64 v[12:13], v[12:13], 3, s[8:9]
	global_load_dwordx2 v[20:21], v[14:15], off
	global_load_dwordx2 v[24:25], v[12:13], off
	s_waitcnt vmcnt(0)
	v_fma_f64 v[14:15], -v[8:9], v[20:21], v[24:25]
	global_store_dwordx2 v[12:13], v[14:15], off
	s_branch .LBB16_40
.LBB16_61:
	s_or_b64 exec, exec, s[2:3]
	v_cmp_lt_i32_e32 vcc, -1, v4
	s_and_saveexec_b64 s[6:7], vcc
	s_cbranch_execz .LBB16_77
; %bb.62:
	v_mov_b32_e32 v5, 0
	v_lshl_add_u64 v[8:9], v[4:5], 3, s[8:9]
	global_load_dwordx2 v[4:5], v[8:9], off
	v_cmp_eq_u32_e64 s[2:3], 0, v16
	s_andn2_b64 vcc, exec, s[30:31]
	s_waitcnt vmcnt(0)
	v_xor_b32_e32 v7, 0x80000000, v5
	v_cmp_gt_f64_e64 s[4:5], 0, v[4:5]
	v_mov_b32_e32 v6, v4
	s_nop 0
	v_cndmask_b32_e64 v7, v5, v7, s[4:5]
	s_mov_b64 s[4:5], -1
	s_cbranch_vccnz .LBB16_66
; %bb.63:
	s_cmp_eq_u64 s[20:21], 8
	v_cvt_f64_f32_e32 v[10:11], v17
	s_cselect_b64 vcc, -1, 0
	v_cndmask_b32_e32 v3, v11, v3, vcc
	v_cndmask_b32_e32 v2, v10, v2, vcc
	v_cmp_le_f64_e32 vcc, v[6:7], v[2:3]
	s_and_b64 s[8:9], s[2:3], vcc
	s_and_saveexec_b64 s[4:5], s[8:9]
	s_cbranch_execz .LBB16_65
; %bb.64:
	global_store_dwordx2 v[8:9], v[22:23], off
	buffer_wbl2 sc1
	s_waitcnt vmcnt(0)
	buffer_inv sc1
.LBB16_65:
	s_or_b64 exec, exec, s[4:5]
	s_mov_b64 s[4:5], 0
.LBB16_66:
	s_andn2_b64 vcc, exec, s[4:5]
	s_cbranch_vccnz .LBB16_77
; %bb.67:
	s_load_dwordx2 s[0:1], s[0:1], 0x48
	v_add_u32_e32 v2, s28, v0
	s_waitcnt lgkmcnt(0)
	v_cmp_ge_f64_e32 vcc, s[0:1], v[6:7]
	s_and_b64 s[4:5], s[2:3], vcc
	s_and_saveexec_b64 s[0:1], s[4:5]
	s_cbranch_execz .LBB16_72
; %bb.68:
	s_mov_b64 s[4:5], exec
	s_brev_b32 s8, -2
.LBB16_69:                              ; =>This Inner Loop Header: Depth=1
	s_ff1_i32_b64 s9, s[4:5]
	v_readlane_b32 s14, v2, s9
	s_lshl_b64 s[10:11], 1, s9
	s_min_i32 s8, s8, s14
	s_andn2_b64 s[4:5], s[4:5], s[10:11]
	s_cmp_lg_u64 s[4:5], 0
	s_cbranch_scc1 .LBB16_69
; %bb.70:
	v_mbcnt_lo_u32_b32 v3, exec_lo, 0
	v_mbcnt_hi_u32_b32 v3, exec_hi, v3
	v_cmp_eq_u32_e32 vcc, 0, v3
	s_and_saveexec_b64 s[4:5], vcc
	s_xor_b64 s[4:5], exec, s[4:5]
	s_cbranch_execz .LBB16_72
; %bb.71:
	v_mov_b32_e32 v3, 0
	v_mov_b32_e32 v6, s8
	global_atomic_smin v3, v6, s[18:19]
.LBB16_72:
	s_or_b64 exec, exec, s[0:1]
	v_cmp_eq_f64_e32 vcc, 0, v[4:5]
	s_and_b64 s[0:1], s[2:3], vcc
	s_and_b64 exec, exec, s[0:1]
	s_cbranch_execz .LBB16_77
; %bb.73:
	s_mov_b64 s[0:1], exec
	s_brev_b32 s2, -2
.LBB16_74:                              ; =>This Inner Loop Header: Depth=1
	s_ff1_i32_b64 s3, s[0:1]
	v_readlane_b32 s8, v2, s3
	s_lshl_b64 s[4:5], 1, s3
	s_min_i32 s2, s2, s8
	s_andn2_b64 s[0:1], s[0:1], s[4:5]
	s_cmp_lg_u64 s[0:1], 0
	s_cbranch_scc1 .LBB16_74
; %bb.75:
	v_mbcnt_lo_u32_b32 v2, exec_lo, 0
	v_mbcnt_hi_u32_b32 v2, exec_hi, v2
	v_cmp_eq_u32_e32 vcc, 0, v2
	s_and_saveexec_b64 s[0:1], vcc
	s_xor_b64 s[0:1], exec, s[0:1]
	s_cbranch_execz .LBB16_77
; %bb.76:
	v_mov_b32_e32 v2, 0
	v_mov_b32_e32 v3, s2
	global_atomic_smin v2, v3, s[16:17]
.LBB16_77:
	s_or_b64 exec, exec, s[6:7]
	v_cmp_eq_u32_e32 vcc, 0, v16
	buffer_wbl2 sc1
	s_waitcnt vmcnt(0)
	buffer_inv sc1
	s_and_b64 exec, exec, vcc
	s_cbranch_execz .LBB16_79
; %bb.78:
	v_lshl_add_u64 v[0:1], v[0:1], 2, s[12:13]
	v_mov_b32_e32 v2, 1
	buffer_wbl2 sc1
	global_store_dword v[0:1], v2, off sc1
.LBB16_79:
	s_endpgm
	.section	.rodata,"a",@progbits
	.p2align	6, 0x0
	.amdhsa_kernel _ZN9rocsparseL12csrilu0_hashILj256ELj32ELj4EdEEviPKiS2_PT2_S2_PiS2_S5_S5_d21rocsparse_index_base_imNS_24const_host_device_scalarIfEENS7_IdEENS7_IS3_EEb
		.amdhsa_group_segment_fixed_size 8192
		.amdhsa_private_segment_fixed_size 0
		.amdhsa_kernarg_size 124
		.amdhsa_user_sgpr_count 2
		.amdhsa_user_sgpr_dispatch_ptr 0
		.amdhsa_user_sgpr_queue_ptr 0
		.amdhsa_user_sgpr_kernarg_segment_ptr 1
		.amdhsa_user_sgpr_dispatch_id 0
		.amdhsa_user_sgpr_kernarg_preload_length 0
		.amdhsa_user_sgpr_kernarg_preload_offset 0
		.amdhsa_user_sgpr_private_segment_size 0
		.amdhsa_uses_dynamic_stack 0
		.amdhsa_enable_private_segment 0
		.amdhsa_system_sgpr_workgroup_id_x 1
		.amdhsa_system_sgpr_workgroup_id_y 0
		.amdhsa_system_sgpr_workgroup_id_z 0
		.amdhsa_system_sgpr_workgroup_info 0
		.amdhsa_system_vgpr_workitem_id 0
		.amdhsa_next_free_vgpr 30
		.amdhsa_next_free_sgpr 62
		.amdhsa_accum_offset 32
		.amdhsa_reserve_vcc 1
		.amdhsa_float_round_mode_32 0
		.amdhsa_float_round_mode_16_64 0
		.amdhsa_float_denorm_mode_32 3
		.amdhsa_float_denorm_mode_16_64 3
		.amdhsa_dx10_clamp 1
		.amdhsa_ieee_mode 1
		.amdhsa_fp16_overflow 0
		.amdhsa_tg_split 0
		.amdhsa_exception_fp_ieee_invalid_op 0
		.amdhsa_exception_fp_denorm_src 0
		.amdhsa_exception_fp_ieee_div_zero 0
		.amdhsa_exception_fp_ieee_overflow 0
		.amdhsa_exception_fp_ieee_underflow 0
		.amdhsa_exception_fp_ieee_inexact 0
		.amdhsa_exception_int_div_zero 0
	.end_amdhsa_kernel
	.section	.text._ZN9rocsparseL12csrilu0_hashILj256ELj32ELj4EdEEviPKiS2_PT2_S2_PiS2_S5_S5_d21rocsparse_index_base_imNS_24const_host_device_scalarIfEENS7_IdEENS7_IS3_EEb,"axG",@progbits,_ZN9rocsparseL12csrilu0_hashILj256ELj32ELj4EdEEviPKiS2_PT2_S2_PiS2_S5_S5_d21rocsparse_index_base_imNS_24const_host_device_scalarIfEENS7_IdEENS7_IS3_EEb,comdat
.Lfunc_end16:
	.size	_ZN9rocsparseL12csrilu0_hashILj256ELj32ELj4EdEEviPKiS2_PT2_S2_PiS2_S5_S5_d21rocsparse_index_base_imNS_24const_host_device_scalarIfEENS7_IdEENS7_IS3_EEb, .Lfunc_end16-_ZN9rocsparseL12csrilu0_hashILj256ELj32ELj4EdEEviPKiS2_PT2_S2_PiS2_S5_S5_d21rocsparse_index_base_imNS_24const_host_device_scalarIfEENS7_IdEENS7_IS3_EEb
                                        ; -- End function
	.set _ZN9rocsparseL12csrilu0_hashILj256ELj32ELj4EdEEviPKiS2_PT2_S2_PiS2_S5_S5_d21rocsparse_index_base_imNS_24const_host_device_scalarIfEENS7_IdEENS7_IS3_EEb.num_vgpr, 30
	.set _ZN9rocsparseL12csrilu0_hashILj256ELj32ELj4EdEEviPKiS2_PT2_S2_PiS2_S5_S5_d21rocsparse_index_base_imNS_24const_host_device_scalarIfEENS7_IdEENS7_IS3_EEb.num_agpr, 0
	.set _ZN9rocsparseL12csrilu0_hashILj256ELj32ELj4EdEEviPKiS2_PT2_S2_PiS2_S5_S5_d21rocsparse_index_base_imNS_24const_host_device_scalarIfEENS7_IdEENS7_IS3_EEb.numbered_sgpr, 62
	.set _ZN9rocsparseL12csrilu0_hashILj256ELj32ELj4EdEEviPKiS2_PT2_S2_PiS2_S5_S5_d21rocsparse_index_base_imNS_24const_host_device_scalarIfEENS7_IdEENS7_IS3_EEb.num_named_barrier, 0
	.set _ZN9rocsparseL12csrilu0_hashILj256ELj32ELj4EdEEviPKiS2_PT2_S2_PiS2_S5_S5_d21rocsparse_index_base_imNS_24const_host_device_scalarIfEENS7_IdEENS7_IS3_EEb.private_seg_size, 0
	.set _ZN9rocsparseL12csrilu0_hashILj256ELj32ELj4EdEEviPKiS2_PT2_S2_PiS2_S5_S5_d21rocsparse_index_base_imNS_24const_host_device_scalarIfEENS7_IdEENS7_IS3_EEb.uses_vcc, 1
	.set _ZN9rocsparseL12csrilu0_hashILj256ELj32ELj4EdEEviPKiS2_PT2_S2_PiS2_S5_S5_d21rocsparse_index_base_imNS_24const_host_device_scalarIfEENS7_IdEENS7_IS3_EEb.uses_flat_scratch, 0
	.set _ZN9rocsparseL12csrilu0_hashILj256ELj32ELj4EdEEviPKiS2_PT2_S2_PiS2_S5_S5_d21rocsparse_index_base_imNS_24const_host_device_scalarIfEENS7_IdEENS7_IS3_EEb.has_dyn_sized_stack, 0
	.set _ZN9rocsparseL12csrilu0_hashILj256ELj32ELj4EdEEviPKiS2_PT2_S2_PiS2_S5_S5_d21rocsparse_index_base_imNS_24const_host_device_scalarIfEENS7_IdEENS7_IS3_EEb.has_recursion, 0
	.set _ZN9rocsparseL12csrilu0_hashILj256ELj32ELj4EdEEviPKiS2_PT2_S2_PiS2_S5_S5_d21rocsparse_index_base_imNS_24const_host_device_scalarIfEENS7_IdEENS7_IS3_EEb.has_indirect_call, 0
	.section	.AMDGPU.csdata,"",@progbits
; Kernel info:
; codeLenInByte = 2464
; TotalNumSgprs: 68
; NumVgprs: 30
; NumAgprs: 0
; TotalNumVgprs: 30
; ScratchSize: 0
; MemoryBound: 0
; FloatMode: 240
; IeeeMode: 1
; LDSByteSize: 8192 bytes/workgroup (compile time only)
; SGPRBlocks: 8
; VGPRBlocks: 3
; NumSGPRsForWavesPerEU: 68
; NumVGPRsForWavesPerEU: 30
; AccumOffset: 32
; Occupancy: 8
; WaveLimiterHint : 1
; COMPUTE_PGM_RSRC2:SCRATCH_EN: 0
; COMPUTE_PGM_RSRC2:USER_SGPR: 2
; COMPUTE_PGM_RSRC2:TRAP_HANDLER: 0
; COMPUTE_PGM_RSRC2:TGID_X_EN: 1
; COMPUTE_PGM_RSRC2:TGID_Y_EN: 0
; COMPUTE_PGM_RSRC2:TGID_Z_EN: 0
; COMPUTE_PGM_RSRC2:TIDIG_COMP_CNT: 0
; COMPUTE_PGM_RSRC3_GFX90A:ACCUM_OFFSET: 7
; COMPUTE_PGM_RSRC3_GFX90A:TG_SPLIT: 0
	.section	.text._ZN9rocsparseL12csrilu0_hashILj256ELj32ELj8EdEEviPKiS2_PT2_S2_PiS2_S5_S5_d21rocsparse_index_base_imNS_24const_host_device_scalarIfEENS7_IdEENS7_IS3_EEb,"axG",@progbits,_ZN9rocsparseL12csrilu0_hashILj256ELj32ELj8EdEEviPKiS2_PT2_S2_PiS2_S5_S5_d21rocsparse_index_base_imNS_24const_host_device_scalarIfEENS7_IdEENS7_IS3_EEb,comdat
	.globl	_ZN9rocsparseL12csrilu0_hashILj256ELj32ELj8EdEEviPKiS2_PT2_S2_PiS2_S5_S5_d21rocsparse_index_base_imNS_24const_host_device_scalarIfEENS7_IdEENS7_IS3_EEb ; -- Begin function _ZN9rocsparseL12csrilu0_hashILj256ELj32ELj8EdEEviPKiS2_PT2_S2_PiS2_S5_S5_d21rocsparse_index_base_imNS_24const_host_device_scalarIfEENS7_IdEENS7_IS3_EEb
	.p2align	8
	.type	_ZN9rocsparseL12csrilu0_hashILj256ELj32ELj8EdEEviPKiS2_PT2_S2_PiS2_S5_S5_d21rocsparse_index_base_imNS_24const_host_device_scalarIfEENS7_IdEENS7_IS3_EEb,@function
_ZN9rocsparseL12csrilu0_hashILj256ELj32ELj8EdEEviPKiS2_PT2_S2_PiS2_S5_S5_d21rocsparse_index_base_imNS_24const_host_device_scalarIfEENS7_IdEENS7_IS3_EEb: ; @_ZN9rocsparseL12csrilu0_hashILj256ELj32ELj8EdEEviPKiS2_PT2_S2_PiS2_S5_S5_d21rocsparse_index_base_imNS_24const_host_device_scalarIfEENS7_IdEENS7_IS3_EEb
; %bb.0:
	s_load_dword s3, s[0:1], 0x78
	s_load_dwordx2 s[28:29], s[0:1], 0x50
	s_load_dwordx8 s[20:27], s[0:1], 0x58
	s_waitcnt lgkmcnt(0)
	s_bitcmp1_b32 s3, 0
	s_cselect_b64 s[4:5], -1, 0
	s_cmp_eq_u32 s29, 0
	s_cselect_b64 s[6:7], -1, 0
	s_cmp_lg_u32 s29, 0
	s_cselect_b64 s[30:31], -1, 0
	s_or_b64 s[4:5], s[6:7], s[4:5]
	s_xor_b64 s[8:9], s[4:5], -1
	s_and_b64 s[10:11], s[6:7], exec
	s_cselect_b32 s11, 0, s25
	s_cselect_b32 s10, 0, s24
	s_and_b64 vcc, exec, s[4:5]
	s_cbranch_vccnz .LBB17_2
; %bb.1:
	s_load_dword s3, s[22:23], 0x0
	s_mov_b64 s[10:11], s[24:25]
	s_waitcnt lgkmcnt(0)
	v_mov_b32_e32 v17, s3
	s_branch .LBB17_3
.LBB17_2:
	v_mov_b32_e32 v1, s22
	v_cndmask_b32_e64 v17, v1, 0, s[6:7]
.LBB17_3:
	v_cndmask_b32_e64 v1, 0, 1, s[8:9]
	v_cmp_ne_u32_e64 s[4:5], 1, v1
	s_andn2_b64 vcc, exec, s[8:9]
	v_mov_b64_e32 v[2:3], s[10:11]
	s_cbranch_vccnz .LBB17_5
; %bb.4:
	v_mov_b64_e32 v[2:3], s[24:25]
	flat_load_dwordx2 v[2:3], v[2:3]
.LBB17_5:
	s_and_b64 s[6:7], s[6:7], exec
	s_cselect_b32 s7, 0, s27
	s_cselect_b32 s6, 0, s26
	s_and_b64 vcc, exec, s[4:5]
	v_mov_b64_e32 v[22:23], s[6:7]
	s_cbranch_vccnz .LBB17_7
; %bb.6:
	v_mov_b64_e32 v[4:5], s[26:27]
	flat_load_dwordx2 v[22:23], v[4:5]
.LBB17_7:
	s_load_dword s3, s[0:1], 0x0
	v_lshlrev_b32_e32 v1, 3, v0
	s_lshl_b32 s2, s2, 3
	v_and_b32_e32 v16, 31, v0
	v_and_b32_e32 v6, 0x700, v1
	v_mov_b32_e32 v1, 0x2000
	v_lshrrev_b32_e32 v0, 5, v0
	s_and_b32 s2, s2, 0x7fffff8
	v_lshl_or_b32 v5, v6, 2, v1
	v_or_b32_e32 v0, s2, v0
	v_lshl_or_b32 v1, v16, 2, v5
	v_mov_b32_e32 v4, -1
	s_waitcnt lgkmcnt(0)
	v_cmp_gt_i32_e32 vcc, s3, v0
	ds_write2_b32 v1, v4, v4 offset1:32
	ds_write2_b32 v1, v4, v4 offset0:64 offset1:96
	ds_write2_b32 v1, v4, v4 offset0:128 offset1:160
	;; [unrolled: 1-line block ×3, first 2 shown]
	s_waitcnt lgkmcnt(0)
	s_and_saveexec_b64 s[2:3], vcc
	s_cbranch_execz .LBB17_79
; %bb.8:
	s_load_dwordx16 s[4:19], s[0:1], 0x8
	v_lshlrev_b32_e32 v0, 2, v0
	v_lshlrev_b32_e32 v18, 2, v6
	s_waitcnt lgkmcnt(0)
	global_load_dword v0, v0, s[14:15]
	s_waitcnt vmcnt(0)
	v_ashrrev_i32_e32 v1, 31, v0
	v_lshlrev_b64 v[8:9], 2, v[0:1]
	v_lshl_add_u64 v[10:11], s[4:5], 0, v[8:9]
	global_load_dwordx2 v[10:11], v[10:11], off
	v_lshl_add_u64 v[8:9], s[10:11], 0, v[8:9]
	global_load_dword v4, v[8:9], off
	s_waitcnt vmcnt(1)
	v_subrev_u32_e32 v6, s28, v10
	v_subrev_u32_e32 v7, s28, v11
	v_add_u32_e32 v8, v6, v16
	v_cmp_lt_i32_e32 vcc, v8, v7
	s_and_saveexec_b64 s[2:3], vcc
	s_cbranch_execz .LBB17_31
; %bb.9:
	s_mov_b64 s[14:15], 0
	s_movk_i32 s29, 0x67
	v_mov_b32_e32 v10, -1
	s_branch .LBB17_11
.LBB17_10:                              ;   in Loop: Header=BB17_11 Depth=1
	s_or_b64 exec, exec, s[22:23]
	v_add_u32_e32 v8, 32, v8
	v_cmp_ge_i32_e32 vcc, v8, v7
	s_or_b64 s[14:15], vcc, s[14:15]
	s_andn2_b64 exec, exec, s[14:15]
	s_cbranch_execz .LBB17_31
.LBB17_11:                              ; =>This Loop Header: Depth=1
                                        ;     Child Loop BB17_20 Depth 2
	v_ashrrev_i32_e32 v9, 31, v8
	v_lshl_add_u64 v[12:13], v[8:9], 2, s[6:7]
	global_load_dword v9, v[12:13], off
	v_mov_b32_e32 v11, 0x100
	s_mov_b64 s[24:25], 0
                                        ; implicit-def: $sgpr22_sgpr23
                                        ; implicit-def: $sgpr26_sgpr27
                                        ; implicit-def: $sgpr34_sgpr35
	s_waitcnt vmcnt(0)
	v_mul_lo_u32 v13, v9, s29
	s_branch .LBB17_20
.LBB17_12:                              ;   in Loop: Header=BB17_20 Depth=2
	s_or_b64 exec, exec, s[54:55]
	s_orn2_b64 s[50:51], s[50:51], exec
	s_orn2_b64 s[52:53], s[52:53], exec
.LBB17_13:                              ;   in Loop: Header=BB17_20 Depth=2
	s_or_b64 exec, exec, s[48:49]
	s_and_b64 s[50:51], s[50:51], exec
	s_orn2_b64 s[48:49], s[52:53], exec
.LBB17_14:                              ;   in Loop: Header=BB17_20 Depth=2
	s_or_b64 exec, exec, s[46:47]
	s_orn2_b64 s[50:51], s[50:51], exec
	s_orn2_b64 s[46:47], s[48:49], exec
.LBB17_15:                              ;   in Loop: Header=BB17_20 Depth=2
	s_or_b64 exec, exec, s[44:45]
	s_and_b64 s[48:49], s[50:51], exec
	s_orn2_b64 s[44:45], s[46:47], exec
.LBB17_16:                              ;   in Loop: Header=BB17_20 Depth=2
	s_or_b64 exec, exec, s[42:43]
	s_orn2_b64 s[42:43], s[48:49], exec
	s_orn2_b64 s[44:45], s[44:45], exec
.LBB17_17:                              ;   in Loop: Header=BB17_20 Depth=2
	s_or_b64 exec, exec, s[40:41]
	s_and_b64 s[42:43], s[42:43], exec
	s_orn2_b64 s[40:41], s[44:45], exec
.LBB17_18:                              ;   in Loop: Header=BB17_20 Depth=2
	s_or_b64 exec, exec, s[38:39]
	s_andn2_b64 s[34:35], s[34:35], exec
	s_and_b64 s[38:39], s[42:43], exec
	s_or_b64 s[34:35], s[34:35], s[38:39]
	s_andn2_b64 s[26:27], s[26:27], exec
	s_and_b64 s[38:39], s[40:41], exec
	s_or_b64 s[26:27], s[26:27], s[38:39]
.LBB17_19:                              ;   in Loop: Header=BB17_20 Depth=2
	s_or_b64 exec, exec, s[36:37]
	s_and_b64 s[36:37], exec, s[26:27]
	s_or_b64 s[24:25], s[36:37], s[24:25]
	s_andn2_b64 s[22:23], s[22:23], exec
	s_and_b64 s[36:37], s[34:35], exec
	s_or_b64 s[22:23], s[22:23], s[36:37]
	s_andn2_b64 exec, exec, s[24:25]
	s_cbranch_execz .LBB17_29
.LBB17_20:                              ;   Parent Loop BB17_11 Depth=1
                                        ; =>  This Inner Loop Header: Depth=2
	v_and_b32_e32 v12, 0xff, v13
	v_lshl_add_u32 v14, v12, 2, v5
	ds_read_b32 v15, v14
	s_or_b64 s[34:35], s[34:35], exec
	s_or_b64 s[26:27], s[26:27], exec
	s_waitcnt lgkmcnt(0)
	v_cmp_ne_u32_e32 vcc, v15, v9
	s_and_saveexec_b64 s[36:37], vcc
	s_cbranch_execz .LBB17_19
; %bb.21:                               ;   in Loop: Header=BB17_20 Depth=2
	ds_cmpst_rtn_b32 v14, v14, v10, v9
	s_mov_b64 s[40:41], -1
	s_mov_b64 s[42:43], 0
	s_waitcnt lgkmcnt(0)
	v_cmp_ne_u32_e32 vcc, -1, v14
	s_and_saveexec_b64 s[38:39], vcc
	s_cbranch_execz .LBB17_18
; %bb.22:                               ;   in Loop: Header=BB17_20 Depth=2
	v_add_u32_e32 v12, 1, v13
	v_and_b32_e32 v12, 0xff, v12
	v_lshl_add_u32 v14, v12, 2, v5
	ds_read_b32 v15, v14
	s_mov_b64 s[44:45], -1
	s_mov_b64 s[42:43], -1
	s_waitcnt lgkmcnt(0)
	v_cmp_ne_u32_e32 vcc, v15, v9
	s_and_saveexec_b64 s[40:41], vcc
	s_cbranch_execz .LBB17_17
; %bb.23:                               ;   in Loop: Header=BB17_20 Depth=2
	ds_cmpst_rtn_b32 v14, v14, v10, v9
	s_mov_b64 s[48:49], 0
	s_waitcnt lgkmcnt(0)
	v_cmp_ne_u32_e32 vcc, -1, v14
	s_and_saveexec_b64 s[42:43], vcc
	s_cbranch_execz .LBB17_16
; %bb.24:                               ;   in Loop: Header=BB17_20 Depth=2
	v_add_u32_e32 v12, 2, v13
	v_and_b32_e32 v12, 0xff, v12
	v_lshl_add_u32 v14, v12, 2, v5
	ds_read_b32 v15, v14
	s_mov_b64 s[46:47], -1
	s_mov_b64 s[50:51], -1
	s_waitcnt lgkmcnt(0)
	v_cmp_ne_u32_e32 vcc, v15, v9
	s_and_saveexec_b64 s[44:45], vcc
	s_cbranch_execz .LBB17_15
; %bb.25:                               ;   in Loop: Header=BB17_20 Depth=2
	ds_cmpst_rtn_b32 v14, v14, v10, v9
	s_mov_b64 s[48:49], -1
	s_mov_b64 s[50:51], 0
	s_waitcnt lgkmcnt(0)
	v_cmp_ne_u32_e32 vcc, -1, v14
	s_and_saveexec_b64 s[46:47], vcc
	s_cbranch_execz .LBB17_14
; %bb.26:                               ;   in Loop: Header=BB17_20 Depth=2
	v_add_u32_e32 v12, 3, v13
	v_and_b32_e32 v12, 0xff, v12
	v_lshl_add_u32 v14, v12, 2, v5
	ds_read_b32 v13, v14
	s_mov_b64 s[52:53], -1
	s_mov_b64 s[50:51], -1
	s_waitcnt lgkmcnt(0)
	v_cmp_ne_u32_e32 vcc, v13, v9
                                        ; implicit-def: $vgpr13
	s_and_saveexec_b64 s[48:49], vcc
	s_cbranch_execz .LBB17_13
; %bb.27:                               ;   in Loop: Header=BB17_20 Depth=2
	ds_cmpst_rtn_b32 v13, v14, v10, v9
	s_mov_b64 s[50:51], 0
	s_waitcnt lgkmcnt(0)
	v_cmp_ne_u32_e32 vcc, -1, v13
                                        ; implicit-def: $vgpr13
	s_and_saveexec_b64 s[54:55], vcc
	s_cbranch_execz .LBB17_12
; %bb.28:                               ;   in Loop: Header=BB17_20 Depth=2
	v_add_u32_e32 v11, -4, v11
	v_cmp_eq_u32_e32 vcc, 0, v11
	s_mov_b64 s[50:51], exec
	v_add_u32_e32 v13, 1, v12
	s_orn2_b64 s[52:53], vcc, exec
	s_branch .LBB17_12
.LBB17_29:                              ;   in Loop: Header=BB17_11 Depth=1
	s_or_b64 exec, exec, s[24:25]
	s_xor_b64 s[22:23], s[22:23], -1
	s_and_saveexec_b64 s[24:25], s[22:23]
	s_xor_b64 s[22:23], exec, s[24:25]
	s_cbranch_execz .LBB17_10
; %bb.30:                               ;   in Loop: Header=BB17_11 Depth=1
	v_lshl_add_u32 v9, v12, 2, v18
	ds_write_b32 v9, v8
	s_branch .LBB17_10
.LBB17_31:
	s_or_b64 exec, exec, s[2:3]
	s_waitcnt vmcnt(0)
	v_cmp_lt_i32_e32 vcc, v6, v4
	s_waitcnt lgkmcnt(0)
	s_and_saveexec_b64 s[2:3], vcc
	s_cbranch_execz .LBB17_61
; %bb.32:
	v_add_u32_e32 v19, 1, v16
	s_mov_b64 s[14:15], 0
	s_movk_i32 s29, 0x67
	s_branch .LBB17_35
.LBB17_33:                              ;   in Loop: Header=BB17_35 Depth=1
	s_or_b64 exec, exec, s[24:25]
	v_add_u32_e32 v6, 1, v6
	v_cmp_ge_i32_e32 vcc, v6, v4
	s_orn2_b64 s[24:25], vcc, exec
.LBB17_34:                              ;   in Loop: Header=BB17_35 Depth=1
	s_or_b64 exec, exec, s[22:23]
	s_and_b64 s[22:23], exec, s[24:25]
	s_or_b64 s[14:15], s[22:23], s[14:15]
	s_andn2_b64 exec, exec, s[14:15]
	s_cbranch_execz .LBB17_61
.LBB17_35:                              ; =>This Loop Header: Depth=1
                                        ;     Child Loop BB17_36 Depth 2
                                        ;     Child Loop BB17_41 Depth 2
                                        ;       Child Loop BB17_50 Depth 3
	v_ashrrev_i32_e32 v7, 31, v6
	v_lshl_add_u64 v[8:9], v[6:7], 2, s[6:7]
	global_load_dword v12, v[8:9], off
	v_lshl_add_u64 v[10:11], v[6:7], 3, s[8:9]
	global_load_dwordx2 v[8:9], v[10:11], off
	s_mov_b64 s[22:23], 0
	s_waitcnt vmcnt(1)
	v_subrev_u32_e32 v12, s28, v12
	v_ashrrev_i32_e32 v13, 31, v12
	v_lshlrev_b64 v[12:13], 2, v[12:13]
	v_lshl_add_u64 v[20:21], s[4:5], 0, v[12:13]
	v_lshl_add_u64 v[24:25], s[10:11], 0, v[12:13]
	global_load_dword v7, v[20:21], off offset:4
	global_load_dword v14, v[24:25], off
	v_lshl_add_u64 v[12:13], s[12:13], 0, v[12:13]
.LBB17_36:                              ;   Parent Loop BB17_35 Depth=1
                                        ; =>  This Inner Loop Header: Depth=2
	global_load_dword v15, v[12:13], off sc1
	s_waitcnt vmcnt(0)
	v_cmp_ne_u32_e32 vcc, 0, v15
	s_or_b64 s[22:23], vcc, s[22:23]
	s_andn2_b64 exec, exec, s[22:23]
	s_cbranch_execnz .LBB17_36
; %bb.37:                               ;   in Loop: Header=BB17_35 Depth=1
	s_or_b64 exec, exec, s[22:23]
	v_subrev_u32_e32 v7, s28, v7
	v_add_u32_e32 v12, -1, v7
	v_cmp_eq_u32_e32 vcc, -1, v14
	buffer_inv sc1
	s_mov_b64 s[24:25], -1
	v_cndmask_b32_e32 v12, v14, v12, vcc
	v_ashrrev_i32_e32 v13, 31, v12
	v_lshl_add_u64 v[14:15], v[12:13], 3, s[8:9]
	global_load_dwordx2 v[14:15], v[14:15], off
	s_waitcnt vmcnt(0)
	v_cmp_neq_f64_e32 vcc, 0, v[14:15]
	s_and_saveexec_b64 s[22:23], vcc
	s_cbranch_execz .LBB17_34
; %bb.38:                               ;   in Loop: Header=BB17_35 Depth=1
	v_div_scale_f64 v[20:21], s[24:25], v[14:15], v[14:15], v[8:9]
	v_rcp_f64_e32 v[24:25], v[20:21]
	v_div_scale_f64 v[26:27], vcc, v[8:9], v[14:15], v[8:9]
	v_fma_f64 v[28:29], -v[20:21], v[24:25], 1.0
	v_fmac_f64_e32 v[24:25], v[24:25], v[28:29]
	v_fma_f64 v[28:29], -v[20:21], v[24:25], 1.0
	v_fmac_f64_e32 v[24:25], v[24:25], v[28:29]
	v_mul_f64 v[28:29], v[26:27], v[24:25]
	v_fma_f64 v[20:21], -v[20:21], v[28:29], v[26:27]
	v_div_fmas_f64 v[20:21], v[20:21], v[24:25], v[28:29]
	v_div_fixup_f64 v[8:9], v[20:21], v[14:15], v[8:9]
	global_store_dwordx2 v[10:11], v[8:9], off
	v_add_u32_e32 v10, v19, v12
	v_cmp_lt_i32_e32 vcc, v10, v7
	s_and_saveexec_b64 s[24:25], vcc
	s_cbranch_execz .LBB17_33
; %bb.39:                               ;   in Loop: Header=BB17_35 Depth=1
	s_mov_b64 s[26:27], 0
	s_branch .LBB17_41
.LBB17_40:                              ;   in Loop: Header=BB17_41 Depth=2
	s_or_b64 exec, exec, s[34:35]
	v_add_u32_e32 v10, 32, v10
	v_cmp_ge_i32_e32 vcc, v10, v7
	s_or_b64 s[26:27], vcc, s[26:27]
	s_andn2_b64 exec, exec, s[26:27]
	s_cbranch_execz .LBB17_33
.LBB17_41:                              ;   Parent Loop BB17_35 Depth=1
                                        ; =>  This Loop Header: Depth=2
                                        ;       Child Loop BB17_50 Depth 3
	v_ashrrev_i32_e32 v11, 31, v10
	v_lshl_add_u64 v[12:13], v[10:11], 2, s[6:7]
	global_load_dword v12, v[12:13], off
	v_mov_b32_e32 v13, 0x100
	s_mov_b64 s[36:37], 0
                                        ; implicit-def: $sgpr34_sgpr35
                                        ; implicit-def: $sgpr38_sgpr39
                                        ; implicit-def: $sgpr40_sgpr41
	s_waitcnt vmcnt(0)
	v_mul_lo_u32 v15, v12, s29
	s_branch .LBB17_50
.LBB17_42:                              ;   in Loop: Header=BB17_50 Depth=3
	s_or_b64 exec, exec, s[60:61]
	s_orn2_b64 s[56:57], s[56:57], exec
	s_orn2_b64 s[58:59], s[58:59], exec
.LBB17_43:                              ;   in Loop: Header=BB17_50 Depth=3
	s_or_b64 exec, exec, s[54:55]
	s_and_b64 s[56:57], s[56:57], exec
	s_orn2_b64 s[54:55], s[58:59], exec
.LBB17_44:                              ;   in Loop: Header=BB17_50 Depth=3
	s_or_b64 exec, exec, s[52:53]
	s_orn2_b64 s[56:57], s[56:57], exec
	s_orn2_b64 s[52:53], s[54:55], exec
.LBB17_45:                              ;   in Loop: Header=BB17_50 Depth=3
	s_or_b64 exec, exec, s[50:51]
	s_and_b64 s[54:55], s[56:57], exec
	s_orn2_b64 s[50:51], s[52:53], exec
.LBB17_46:                              ;   in Loop: Header=BB17_50 Depth=3
	s_or_b64 exec, exec, s[48:49]
	s_orn2_b64 s[48:49], s[54:55], exec
	s_orn2_b64 s[50:51], s[50:51], exec
.LBB17_47:                              ;   in Loop: Header=BB17_50 Depth=3
	s_or_b64 exec, exec, s[46:47]
	s_and_b64 s[48:49], s[48:49], exec
	s_orn2_b64 s[46:47], s[50:51], exec
.LBB17_48:                              ;   in Loop: Header=BB17_50 Depth=3
	s_or_b64 exec, exec, s[44:45]
	s_andn2_b64 s[40:41], s[40:41], exec
	s_and_b64 s[44:45], s[48:49], exec
	s_or_b64 s[40:41], s[40:41], s[44:45]
	s_andn2_b64 s[38:39], s[38:39], exec
	s_and_b64 s[44:45], s[46:47], exec
	s_or_b64 s[38:39], s[38:39], s[44:45]
.LBB17_49:                              ;   in Loop: Header=BB17_50 Depth=3
	s_or_b64 exec, exec, s[42:43]
	s_and_b64 s[42:43], exec, s[38:39]
	s_or_b64 s[36:37], s[42:43], s[36:37]
	s_andn2_b64 s[34:35], s[34:35], exec
	s_and_b64 s[42:43], s[40:41], exec
	s_or_b64 s[34:35], s[34:35], s[42:43]
	s_andn2_b64 exec, exec, s[36:37]
	s_cbranch_execz .LBB17_59
.LBB17_50:                              ;   Parent Loop BB17_35 Depth=1
                                        ;     Parent Loop BB17_41 Depth=2
                                        ; =>    This Inner Loop Header: Depth=3
	v_and_b32_e32 v14, 0xff, v15
	v_lshl_add_u32 v20, v14, 2, v5
	ds_read_b32 v20, v20
	s_or_b64 s[40:41], s[40:41], exec
	s_or_b64 s[38:39], s[38:39], exec
	s_waitcnt lgkmcnt(0)
	v_cmp_ne_u32_e32 vcc, -1, v20
	s_and_saveexec_b64 s[42:43], vcc
	s_cbranch_execz .LBB17_49
; %bb.51:                               ;   in Loop: Header=BB17_50 Depth=3
	v_cmp_ne_u32_e32 vcc, v20, v12
	s_mov_b64 s[46:47], -1
	s_mov_b64 s[48:49], 0
	s_and_saveexec_b64 s[44:45], vcc
	s_cbranch_execz .LBB17_48
; %bb.52:                               ;   in Loop: Header=BB17_50 Depth=3
	v_add_u32_e32 v14, 1, v15
	v_and_b32_e32 v14, 0xff, v14
	v_lshl_add_u32 v20, v14, 2, v5
	ds_read_b32 v20, v20
	s_mov_b64 s[50:51], -1
	s_mov_b64 s[48:49], -1
	s_waitcnt lgkmcnt(0)
	v_cmp_ne_u32_e32 vcc, -1, v20
	s_and_saveexec_b64 s[46:47], vcc
	s_cbranch_execz .LBB17_47
; %bb.53:                               ;   in Loop: Header=BB17_50 Depth=3
	v_cmp_ne_u32_e32 vcc, v20, v12
	s_mov_b64 s[54:55], 0
	s_and_saveexec_b64 s[48:49], vcc
	s_cbranch_execz .LBB17_46
; %bb.54:                               ;   in Loop: Header=BB17_50 Depth=3
	v_add_u32_e32 v14, 2, v15
	v_and_b32_e32 v14, 0xff, v14
	v_lshl_add_u32 v20, v14, 2, v5
	ds_read_b32 v20, v20
	s_mov_b64 s[52:53], -1
	s_mov_b64 s[56:57], -1
	s_waitcnt lgkmcnt(0)
	v_cmp_ne_u32_e32 vcc, -1, v20
	s_and_saveexec_b64 s[50:51], vcc
	s_cbranch_execz .LBB17_45
; %bb.55:                               ;   in Loop: Header=BB17_50 Depth=3
	v_cmp_ne_u32_e32 vcc, v20, v12
	s_mov_b64 s[54:55], -1
	s_mov_b64 s[56:57], 0
	s_and_saveexec_b64 s[52:53], vcc
	s_cbranch_execz .LBB17_44
; %bb.56:                               ;   in Loop: Header=BB17_50 Depth=3
	v_add_u32_e32 v14, 3, v15
	v_and_b32_e32 v14, 0xff, v14
	v_lshl_add_u32 v15, v14, 2, v5
	ds_read_b32 v20, v15
	s_mov_b64 s[58:59], -1
	s_mov_b64 s[56:57], -1
                                        ; implicit-def: $vgpr15
	s_waitcnt lgkmcnt(0)
	v_cmp_ne_u32_e32 vcc, -1, v20
	s_and_saveexec_b64 s[54:55], vcc
	s_cbranch_execz .LBB17_43
; %bb.57:                               ;   in Loop: Header=BB17_50 Depth=3
	v_cmp_ne_u32_e32 vcc, v20, v12
	s_mov_b64 s[56:57], 0
                                        ; implicit-def: $vgpr15
	s_and_saveexec_b64 s[60:61], vcc
	s_cbranch_execz .LBB17_42
; %bb.58:                               ;   in Loop: Header=BB17_50 Depth=3
	v_add_u32_e32 v13, -4, v13
	v_cmp_eq_u32_e32 vcc, 0, v13
	s_mov_b64 s[56:57], exec
	v_add_u32_e32 v15, 1, v14
	s_orn2_b64 s[58:59], vcc, exec
	s_branch .LBB17_42
.LBB17_59:                              ;   in Loop: Header=BB17_41 Depth=2
	s_or_b64 exec, exec, s[36:37]
	s_xor_b64 s[34:35], s[34:35], -1
	s_and_saveexec_b64 s[36:37], s[34:35]
	s_xor_b64 s[34:35], exec, s[36:37]
	s_cbranch_execz .LBB17_40
; %bb.60:                               ;   in Loop: Header=BB17_41 Depth=2
	v_lshl_add_u32 v12, v14, 2, v18
	ds_read_b32 v12, v12
	v_lshl_add_u64 v[14:15], v[10:11], 3, s[8:9]
	s_waitcnt lgkmcnt(0)
	v_ashrrev_i32_e32 v13, 31, v12
	v_lshl_add_u64 v[12:13], v[12:13], 3, s[8:9]
	global_load_dwordx2 v[20:21], v[14:15], off
	global_load_dwordx2 v[24:25], v[12:13], off
	s_waitcnt vmcnt(0)
	v_fma_f64 v[14:15], -v[8:9], v[20:21], v[24:25]
	global_store_dwordx2 v[12:13], v[14:15], off
	s_branch .LBB17_40
.LBB17_61:
	s_or_b64 exec, exec, s[2:3]
	v_cmp_lt_i32_e32 vcc, -1, v4
	s_and_saveexec_b64 s[6:7], vcc
	s_cbranch_execz .LBB17_77
; %bb.62:
	v_mov_b32_e32 v5, 0
	v_lshl_add_u64 v[8:9], v[4:5], 3, s[8:9]
	global_load_dwordx2 v[4:5], v[8:9], off
	v_cmp_eq_u32_e64 s[2:3], 0, v16
	s_andn2_b64 vcc, exec, s[30:31]
	s_waitcnt vmcnt(0)
	v_xor_b32_e32 v7, 0x80000000, v5
	v_cmp_gt_f64_e64 s[4:5], 0, v[4:5]
	v_mov_b32_e32 v6, v4
	s_nop 0
	v_cndmask_b32_e64 v7, v5, v7, s[4:5]
	s_mov_b64 s[4:5], -1
	s_cbranch_vccnz .LBB17_66
; %bb.63:
	s_cmp_eq_u64 s[20:21], 8
	v_cvt_f64_f32_e32 v[10:11], v17
	s_cselect_b64 vcc, -1, 0
	v_cndmask_b32_e32 v3, v11, v3, vcc
	v_cndmask_b32_e32 v2, v10, v2, vcc
	v_cmp_le_f64_e32 vcc, v[6:7], v[2:3]
	s_and_b64 s[8:9], s[2:3], vcc
	s_and_saveexec_b64 s[4:5], s[8:9]
	s_cbranch_execz .LBB17_65
; %bb.64:
	global_store_dwordx2 v[8:9], v[22:23], off
	buffer_wbl2 sc1
	s_waitcnt vmcnt(0)
	buffer_inv sc1
.LBB17_65:
	s_or_b64 exec, exec, s[4:5]
	s_mov_b64 s[4:5], 0
.LBB17_66:
	s_andn2_b64 vcc, exec, s[4:5]
	s_cbranch_vccnz .LBB17_77
; %bb.67:
	s_load_dwordx2 s[0:1], s[0:1], 0x48
	v_add_u32_e32 v2, s28, v0
	s_waitcnt lgkmcnt(0)
	v_cmp_ge_f64_e32 vcc, s[0:1], v[6:7]
	s_and_b64 s[4:5], s[2:3], vcc
	s_and_saveexec_b64 s[0:1], s[4:5]
	s_cbranch_execz .LBB17_72
; %bb.68:
	s_mov_b64 s[4:5], exec
	s_brev_b32 s8, -2
.LBB17_69:                              ; =>This Inner Loop Header: Depth=1
	s_ff1_i32_b64 s9, s[4:5]
	v_readlane_b32 s14, v2, s9
	s_lshl_b64 s[10:11], 1, s9
	s_min_i32 s8, s8, s14
	s_andn2_b64 s[4:5], s[4:5], s[10:11]
	s_cmp_lg_u64 s[4:5], 0
	s_cbranch_scc1 .LBB17_69
; %bb.70:
	v_mbcnt_lo_u32_b32 v3, exec_lo, 0
	v_mbcnt_hi_u32_b32 v3, exec_hi, v3
	v_cmp_eq_u32_e32 vcc, 0, v3
	s_and_saveexec_b64 s[4:5], vcc
	s_xor_b64 s[4:5], exec, s[4:5]
	s_cbranch_execz .LBB17_72
; %bb.71:
	v_mov_b32_e32 v3, 0
	v_mov_b32_e32 v6, s8
	global_atomic_smin v3, v6, s[18:19]
.LBB17_72:
	s_or_b64 exec, exec, s[0:1]
	v_cmp_eq_f64_e32 vcc, 0, v[4:5]
	s_and_b64 s[0:1], s[2:3], vcc
	s_and_b64 exec, exec, s[0:1]
	s_cbranch_execz .LBB17_77
; %bb.73:
	s_mov_b64 s[0:1], exec
	s_brev_b32 s2, -2
.LBB17_74:                              ; =>This Inner Loop Header: Depth=1
	s_ff1_i32_b64 s3, s[0:1]
	v_readlane_b32 s8, v2, s3
	s_lshl_b64 s[4:5], 1, s3
	s_min_i32 s2, s2, s8
	s_andn2_b64 s[0:1], s[0:1], s[4:5]
	s_cmp_lg_u64 s[0:1], 0
	s_cbranch_scc1 .LBB17_74
; %bb.75:
	v_mbcnt_lo_u32_b32 v2, exec_lo, 0
	v_mbcnt_hi_u32_b32 v2, exec_hi, v2
	v_cmp_eq_u32_e32 vcc, 0, v2
	s_and_saveexec_b64 s[0:1], vcc
	s_xor_b64 s[0:1], exec, s[0:1]
	s_cbranch_execz .LBB17_77
; %bb.76:
	v_mov_b32_e32 v2, 0
	v_mov_b32_e32 v3, s2
	global_atomic_smin v2, v3, s[16:17]
.LBB17_77:
	s_or_b64 exec, exec, s[6:7]
	v_cmp_eq_u32_e32 vcc, 0, v16
	buffer_wbl2 sc1
	s_waitcnt vmcnt(0)
	buffer_inv sc1
	s_and_b64 exec, exec, vcc
	s_cbranch_execz .LBB17_79
; %bb.78:
	v_lshl_add_u64 v[0:1], v[0:1], 2, s[12:13]
	v_mov_b32_e32 v2, 1
	buffer_wbl2 sc1
	global_store_dword v[0:1], v2, off sc1
.LBB17_79:
	s_endpgm
	.section	.rodata,"a",@progbits
	.p2align	6, 0x0
	.amdhsa_kernel _ZN9rocsparseL12csrilu0_hashILj256ELj32ELj8EdEEviPKiS2_PT2_S2_PiS2_S5_S5_d21rocsparse_index_base_imNS_24const_host_device_scalarIfEENS7_IdEENS7_IS3_EEb
		.amdhsa_group_segment_fixed_size 16384
		.amdhsa_private_segment_fixed_size 0
		.amdhsa_kernarg_size 124
		.amdhsa_user_sgpr_count 2
		.amdhsa_user_sgpr_dispatch_ptr 0
		.amdhsa_user_sgpr_queue_ptr 0
		.amdhsa_user_sgpr_kernarg_segment_ptr 1
		.amdhsa_user_sgpr_dispatch_id 0
		.amdhsa_user_sgpr_kernarg_preload_length 0
		.amdhsa_user_sgpr_kernarg_preload_offset 0
		.amdhsa_user_sgpr_private_segment_size 0
		.amdhsa_uses_dynamic_stack 0
		.amdhsa_enable_private_segment 0
		.amdhsa_system_sgpr_workgroup_id_x 1
		.amdhsa_system_sgpr_workgroup_id_y 0
		.amdhsa_system_sgpr_workgroup_id_z 0
		.amdhsa_system_sgpr_workgroup_info 0
		.amdhsa_system_vgpr_workitem_id 0
		.amdhsa_next_free_vgpr 30
		.amdhsa_next_free_sgpr 62
		.amdhsa_accum_offset 32
		.amdhsa_reserve_vcc 1
		.amdhsa_float_round_mode_32 0
		.amdhsa_float_round_mode_16_64 0
		.amdhsa_float_denorm_mode_32 3
		.amdhsa_float_denorm_mode_16_64 3
		.amdhsa_dx10_clamp 1
		.amdhsa_ieee_mode 1
		.amdhsa_fp16_overflow 0
		.amdhsa_tg_split 0
		.amdhsa_exception_fp_ieee_invalid_op 0
		.amdhsa_exception_fp_denorm_src 0
		.amdhsa_exception_fp_ieee_div_zero 0
		.amdhsa_exception_fp_ieee_overflow 0
		.amdhsa_exception_fp_ieee_underflow 0
		.amdhsa_exception_fp_ieee_inexact 0
		.amdhsa_exception_int_div_zero 0
	.end_amdhsa_kernel
	.section	.text._ZN9rocsparseL12csrilu0_hashILj256ELj32ELj8EdEEviPKiS2_PT2_S2_PiS2_S5_S5_d21rocsparse_index_base_imNS_24const_host_device_scalarIfEENS7_IdEENS7_IS3_EEb,"axG",@progbits,_ZN9rocsparseL12csrilu0_hashILj256ELj32ELj8EdEEviPKiS2_PT2_S2_PiS2_S5_S5_d21rocsparse_index_base_imNS_24const_host_device_scalarIfEENS7_IdEENS7_IS3_EEb,comdat
.Lfunc_end17:
	.size	_ZN9rocsparseL12csrilu0_hashILj256ELj32ELj8EdEEviPKiS2_PT2_S2_PiS2_S5_S5_d21rocsparse_index_base_imNS_24const_host_device_scalarIfEENS7_IdEENS7_IS3_EEb, .Lfunc_end17-_ZN9rocsparseL12csrilu0_hashILj256ELj32ELj8EdEEviPKiS2_PT2_S2_PiS2_S5_S5_d21rocsparse_index_base_imNS_24const_host_device_scalarIfEENS7_IdEENS7_IS3_EEb
                                        ; -- End function
	.set _ZN9rocsparseL12csrilu0_hashILj256ELj32ELj8EdEEviPKiS2_PT2_S2_PiS2_S5_S5_d21rocsparse_index_base_imNS_24const_host_device_scalarIfEENS7_IdEENS7_IS3_EEb.num_vgpr, 30
	.set _ZN9rocsparseL12csrilu0_hashILj256ELj32ELj8EdEEviPKiS2_PT2_S2_PiS2_S5_S5_d21rocsparse_index_base_imNS_24const_host_device_scalarIfEENS7_IdEENS7_IS3_EEb.num_agpr, 0
	.set _ZN9rocsparseL12csrilu0_hashILj256ELj32ELj8EdEEviPKiS2_PT2_S2_PiS2_S5_S5_d21rocsparse_index_base_imNS_24const_host_device_scalarIfEENS7_IdEENS7_IS3_EEb.numbered_sgpr, 62
	.set _ZN9rocsparseL12csrilu0_hashILj256ELj32ELj8EdEEviPKiS2_PT2_S2_PiS2_S5_S5_d21rocsparse_index_base_imNS_24const_host_device_scalarIfEENS7_IdEENS7_IS3_EEb.num_named_barrier, 0
	.set _ZN9rocsparseL12csrilu0_hashILj256ELj32ELj8EdEEviPKiS2_PT2_S2_PiS2_S5_S5_d21rocsparse_index_base_imNS_24const_host_device_scalarIfEENS7_IdEENS7_IS3_EEb.private_seg_size, 0
	.set _ZN9rocsparseL12csrilu0_hashILj256ELj32ELj8EdEEviPKiS2_PT2_S2_PiS2_S5_S5_d21rocsparse_index_base_imNS_24const_host_device_scalarIfEENS7_IdEENS7_IS3_EEb.uses_vcc, 1
	.set _ZN9rocsparseL12csrilu0_hashILj256ELj32ELj8EdEEviPKiS2_PT2_S2_PiS2_S5_S5_d21rocsparse_index_base_imNS_24const_host_device_scalarIfEENS7_IdEENS7_IS3_EEb.uses_flat_scratch, 0
	.set _ZN9rocsparseL12csrilu0_hashILj256ELj32ELj8EdEEviPKiS2_PT2_S2_PiS2_S5_S5_d21rocsparse_index_base_imNS_24const_host_device_scalarIfEENS7_IdEENS7_IS3_EEb.has_dyn_sized_stack, 0
	.set _ZN9rocsparseL12csrilu0_hashILj256ELj32ELj8EdEEviPKiS2_PT2_S2_PiS2_S5_S5_d21rocsparse_index_base_imNS_24const_host_device_scalarIfEENS7_IdEENS7_IS3_EEb.has_recursion, 0
	.set _ZN9rocsparseL12csrilu0_hashILj256ELj32ELj8EdEEviPKiS2_PT2_S2_PiS2_S5_S5_d21rocsparse_index_base_imNS_24const_host_device_scalarIfEENS7_IdEENS7_IS3_EEb.has_indirect_call, 0
	.section	.AMDGPU.csdata,"",@progbits
; Kernel info:
; codeLenInByte = 2480
; TotalNumSgprs: 68
; NumVgprs: 30
; NumAgprs: 0
; TotalNumVgprs: 30
; ScratchSize: 0
; MemoryBound: 0
; FloatMode: 240
; IeeeMode: 1
; LDSByteSize: 16384 bytes/workgroup (compile time only)
; SGPRBlocks: 8
; VGPRBlocks: 3
; NumSGPRsForWavesPerEU: 68
; NumVGPRsForWavesPerEU: 30
; AccumOffset: 32
; Occupancy: 8
; WaveLimiterHint : 1
; COMPUTE_PGM_RSRC2:SCRATCH_EN: 0
; COMPUTE_PGM_RSRC2:USER_SGPR: 2
; COMPUTE_PGM_RSRC2:TRAP_HANDLER: 0
; COMPUTE_PGM_RSRC2:TGID_X_EN: 1
; COMPUTE_PGM_RSRC2:TGID_Y_EN: 0
; COMPUTE_PGM_RSRC2:TGID_Z_EN: 0
; COMPUTE_PGM_RSRC2:TIDIG_COMP_CNT: 0
; COMPUTE_PGM_RSRC3_GFX90A:ACCUM_OFFSET: 7
; COMPUTE_PGM_RSRC3_GFX90A:TG_SPLIT: 0
	.section	.text._ZN9rocsparseL12csrilu0_hashILj256ELj32ELj16EdEEviPKiS2_PT2_S2_PiS2_S5_S5_d21rocsparse_index_base_imNS_24const_host_device_scalarIfEENS7_IdEENS7_IS3_EEb,"axG",@progbits,_ZN9rocsparseL12csrilu0_hashILj256ELj32ELj16EdEEviPKiS2_PT2_S2_PiS2_S5_S5_d21rocsparse_index_base_imNS_24const_host_device_scalarIfEENS7_IdEENS7_IS3_EEb,comdat
	.globl	_ZN9rocsparseL12csrilu0_hashILj256ELj32ELj16EdEEviPKiS2_PT2_S2_PiS2_S5_S5_d21rocsparse_index_base_imNS_24const_host_device_scalarIfEENS7_IdEENS7_IS3_EEb ; -- Begin function _ZN9rocsparseL12csrilu0_hashILj256ELj32ELj16EdEEviPKiS2_PT2_S2_PiS2_S5_S5_d21rocsparse_index_base_imNS_24const_host_device_scalarIfEENS7_IdEENS7_IS3_EEb
	.p2align	8
	.type	_ZN9rocsparseL12csrilu0_hashILj256ELj32ELj16EdEEviPKiS2_PT2_S2_PiS2_S5_S5_d21rocsparse_index_base_imNS_24const_host_device_scalarIfEENS7_IdEENS7_IS3_EEb,@function
_ZN9rocsparseL12csrilu0_hashILj256ELj32ELj16EdEEviPKiS2_PT2_S2_PiS2_S5_S5_d21rocsparse_index_base_imNS_24const_host_device_scalarIfEENS7_IdEENS7_IS3_EEb: ; @_ZN9rocsparseL12csrilu0_hashILj256ELj32ELj16EdEEviPKiS2_PT2_S2_PiS2_S5_S5_d21rocsparse_index_base_imNS_24const_host_device_scalarIfEENS7_IdEENS7_IS3_EEb
; %bb.0:
	s_load_dword s3, s[0:1], 0x78
	s_load_dwordx2 s[28:29], s[0:1], 0x50
	s_load_dwordx8 s[20:27], s[0:1], 0x58
	s_waitcnt lgkmcnt(0)
	s_bitcmp1_b32 s3, 0
	s_cselect_b64 s[4:5], -1, 0
	s_cmp_eq_u32 s29, 0
	s_cselect_b64 s[6:7], -1, 0
	s_cmp_lg_u32 s29, 0
	s_cselect_b64 s[30:31], -1, 0
	s_or_b64 s[4:5], s[6:7], s[4:5]
	s_xor_b64 s[8:9], s[4:5], -1
	s_and_b64 s[10:11], s[6:7], exec
	s_cselect_b32 s11, 0, s25
	s_cselect_b32 s10, 0, s24
	s_and_b64 vcc, exec, s[4:5]
	s_cbranch_vccnz .LBB18_2
; %bb.1:
	s_load_dword s3, s[22:23], 0x0
	s_mov_b64 s[10:11], s[24:25]
	s_waitcnt lgkmcnt(0)
	v_mov_b32_e32 v17, s3
	s_branch .LBB18_3
.LBB18_2:
	v_mov_b32_e32 v1, s22
	v_cndmask_b32_e64 v17, v1, 0, s[6:7]
.LBB18_3:
	v_cndmask_b32_e64 v1, 0, 1, s[8:9]
	v_cmp_ne_u32_e64 s[4:5], 1, v1
	s_andn2_b64 vcc, exec, s[8:9]
	v_mov_b64_e32 v[4:5], s[10:11]
	s_cbranch_vccnz .LBB18_5
; %bb.4:
	v_mov_b64_e32 v[2:3], s[24:25]
	flat_load_dwordx2 v[4:5], v[2:3]
.LBB18_5:
	s_and_b64 s[6:7], s[6:7], exec
	s_cselect_b32 s7, 0, s27
	s_cselect_b32 s6, 0, s26
	s_and_b64 vcc, exec, s[4:5]
	v_mov_b64_e32 v[22:23], s[6:7]
	s_cbranch_vccnz .LBB18_7
; %bb.6:
	v_mov_b64_e32 v[2:3], s[26:27]
	flat_load_dwordx2 v[22:23], v[2:3]
.LBB18_7:
	v_and_b32_e32 v16, 31, v0
	v_lshrrev_b32_e32 v1, 5, v0
	v_lshlrev_b32_e32 v3, 11, v1
	v_lshlrev_b32_e32 v6, 2, v16
	s_movk_i32 s3, 0x4000
	v_or_b32_e32 v2, 0xffffffe0, v16
	v_or3_b32 v3, v3, v6, s3
	s_mov_b64 s[4:5], 0
	v_mov_b32_e32 v6, -1
	s_movk_i32 s3, 0x1df
.LBB18_8:                               ; =>This Inner Loop Header: Depth=1
	v_add_u32_e32 v2, 32, v2
	v_cmp_lt_u32_e32 vcc, s3, v2
	ds_write_b32 v3, v6
	s_or_b64 s[4:5], vcc, s[4:5]
	v_add_u32_e32 v3, 0x80, v3
	s_andn2_b64 exec, exec, s[4:5]
	s_cbranch_execnz .LBB18_8
; %bb.9:
	s_or_b64 exec, exec, s[4:5]
	s_load_dword s3, s[0:1], 0x0
	s_lshl_b32 s2, s2, 3
	s_and_b32 s2, s2, 0x7fffff8
	v_or_b32_e32 v1, s2, v1
	s_waitcnt lgkmcnt(0)
	v_cmp_gt_i32_e32 vcc, s3, v1
	s_and_saveexec_b64 s[2:3], vcc
	s_cbranch_execz .LBB18_81
; %bb.10:
	s_load_dwordx16 s[4:19], s[0:1], 0x8
	v_lshlrev_b32_e32 v1, 2, v1
	v_lshlrev_b32_e32 v0, 6, v0
	s_waitcnt lgkmcnt(0)
	global_load_dword v2, v1, s[14:15]
	s_waitcnt vmcnt(0)
	v_ashrrev_i32_e32 v3, 31, v2
	v_lshlrev_b64 v[6:7], 2, v[2:3]
	v_lshl_add_u64 v[8:9], s[4:5], 0, v[6:7]
	global_load_dwordx2 v[8:9], v[8:9], off
	v_lshl_add_u64 v[6:7], s[10:11], 0, v[6:7]
	global_load_dword v6, v[6:7], off
	v_and_b32_e32 v7, 0x3800, v0
	v_or_b32_e32 v18, 0x4000, v7
	s_waitcnt vmcnt(1)
	v_subrev_u32_e32 v0, s28, v8
	v_subrev_u32_e32 v1, s28, v9
	v_add_u32_e32 v8, v0, v16
	v_cmp_lt_i32_e32 vcc, v8, v1
	s_and_saveexec_b64 s[2:3], vcc
	s_cbranch_execz .LBB18_33
; %bb.11:
	s_mov_b64 s[14:15], 0
	s_movk_i32 s29, 0x67
	v_mov_b32_e32 v10, -1
	s_branch .LBB18_13
.LBB18_12:                              ;   in Loop: Header=BB18_13 Depth=1
	s_or_b64 exec, exec, s[22:23]
	v_add_u32_e32 v8, 32, v8
	v_cmp_ge_i32_e32 vcc, v8, v1
	s_or_b64 s[14:15], vcc, s[14:15]
	s_andn2_b64 exec, exec, s[14:15]
	s_cbranch_execz .LBB18_33
.LBB18_13:                              ; =>This Loop Header: Depth=1
                                        ;     Child Loop BB18_22 Depth 2
	v_ashrrev_i32_e32 v9, 31, v8
	v_lshl_add_u64 v[12:13], v[8:9], 2, s[6:7]
	global_load_dword v9, v[12:13], off
	v_mov_b32_e32 v11, 0x200
	s_mov_b64 s[24:25], 0
                                        ; implicit-def: $sgpr22_sgpr23
                                        ; implicit-def: $sgpr26_sgpr27
                                        ; implicit-def: $sgpr34_sgpr35
	s_waitcnt vmcnt(0)
	v_mul_lo_u32 v13, v9, s29
	s_branch .LBB18_22
.LBB18_14:                              ;   in Loop: Header=BB18_22 Depth=2
	s_or_b64 exec, exec, s[54:55]
	s_orn2_b64 s[50:51], s[50:51], exec
	s_orn2_b64 s[52:53], s[52:53], exec
.LBB18_15:                              ;   in Loop: Header=BB18_22 Depth=2
	s_or_b64 exec, exec, s[48:49]
	s_and_b64 s[50:51], s[50:51], exec
	s_orn2_b64 s[48:49], s[52:53], exec
.LBB18_16:                              ;   in Loop: Header=BB18_22 Depth=2
	s_or_b64 exec, exec, s[46:47]
	s_orn2_b64 s[50:51], s[50:51], exec
	s_orn2_b64 s[46:47], s[48:49], exec
.LBB18_17:                              ;   in Loop: Header=BB18_22 Depth=2
	s_or_b64 exec, exec, s[44:45]
	s_and_b64 s[48:49], s[50:51], exec
	s_orn2_b64 s[44:45], s[46:47], exec
.LBB18_18:                              ;   in Loop: Header=BB18_22 Depth=2
	s_or_b64 exec, exec, s[42:43]
	s_orn2_b64 s[42:43], s[48:49], exec
	s_orn2_b64 s[44:45], s[44:45], exec
.LBB18_19:                              ;   in Loop: Header=BB18_22 Depth=2
	s_or_b64 exec, exec, s[40:41]
	s_and_b64 s[42:43], s[42:43], exec
	s_orn2_b64 s[40:41], s[44:45], exec
.LBB18_20:                              ;   in Loop: Header=BB18_22 Depth=2
	s_or_b64 exec, exec, s[38:39]
	s_andn2_b64 s[34:35], s[34:35], exec
	s_and_b64 s[38:39], s[42:43], exec
	s_or_b64 s[34:35], s[34:35], s[38:39]
	s_andn2_b64 s[26:27], s[26:27], exec
	s_and_b64 s[38:39], s[40:41], exec
	s_or_b64 s[26:27], s[26:27], s[38:39]
.LBB18_21:                              ;   in Loop: Header=BB18_22 Depth=2
	s_or_b64 exec, exec, s[36:37]
	s_and_b64 s[36:37], exec, s[26:27]
	s_or_b64 s[24:25], s[36:37], s[24:25]
	s_andn2_b64 s[22:23], s[22:23], exec
	s_and_b64 s[36:37], s[34:35], exec
	s_or_b64 s[22:23], s[22:23], s[36:37]
	s_andn2_b64 exec, exec, s[24:25]
	s_cbranch_execz .LBB18_31
.LBB18_22:                              ;   Parent Loop BB18_13 Depth=1
                                        ; =>  This Inner Loop Header: Depth=2
	v_and_b32_e32 v12, 0x1ff, v13
	v_lshl_add_u32 v14, v12, 2, v18
	ds_read_b32 v15, v14
	s_or_b64 s[34:35], s[34:35], exec
	s_or_b64 s[26:27], s[26:27], exec
	s_waitcnt lgkmcnt(0)
	v_cmp_ne_u32_e32 vcc, v15, v9
	s_and_saveexec_b64 s[36:37], vcc
	s_cbranch_execz .LBB18_21
; %bb.23:                               ;   in Loop: Header=BB18_22 Depth=2
	ds_cmpst_rtn_b32 v14, v14, v10, v9
	s_mov_b64 s[40:41], -1
	s_mov_b64 s[42:43], 0
	s_waitcnt lgkmcnt(0)
	v_cmp_ne_u32_e32 vcc, -1, v14
	s_and_saveexec_b64 s[38:39], vcc
	s_cbranch_execz .LBB18_20
; %bb.24:                               ;   in Loop: Header=BB18_22 Depth=2
	v_add_u32_e32 v12, 1, v13
	v_and_b32_e32 v12, 0x1ff, v12
	v_lshl_add_u32 v14, v12, 2, v18
	ds_read_b32 v15, v14
	s_mov_b64 s[44:45], -1
	s_mov_b64 s[42:43], -1
	s_waitcnt lgkmcnt(0)
	v_cmp_ne_u32_e32 vcc, v15, v9
	s_and_saveexec_b64 s[40:41], vcc
	s_cbranch_execz .LBB18_19
; %bb.25:                               ;   in Loop: Header=BB18_22 Depth=2
	ds_cmpst_rtn_b32 v14, v14, v10, v9
	s_mov_b64 s[48:49], 0
	s_waitcnt lgkmcnt(0)
	v_cmp_ne_u32_e32 vcc, -1, v14
	s_and_saveexec_b64 s[42:43], vcc
	s_cbranch_execz .LBB18_18
; %bb.26:                               ;   in Loop: Header=BB18_22 Depth=2
	v_add_u32_e32 v12, 2, v13
	v_and_b32_e32 v12, 0x1ff, v12
	v_lshl_add_u32 v14, v12, 2, v18
	ds_read_b32 v15, v14
	s_mov_b64 s[46:47], -1
	s_mov_b64 s[50:51], -1
	s_waitcnt lgkmcnt(0)
	v_cmp_ne_u32_e32 vcc, v15, v9
	s_and_saveexec_b64 s[44:45], vcc
	s_cbranch_execz .LBB18_17
; %bb.27:                               ;   in Loop: Header=BB18_22 Depth=2
	ds_cmpst_rtn_b32 v14, v14, v10, v9
	s_mov_b64 s[48:49], -1
	s_mov_b64 s[50:51], 0
	s_waitcnt lgkmcnt(0)
	v_cmp_ne_u32_e32 vcc, -1, v14
	s_and_saveexec_b64 s[46:47], vcc
	s_cbranch_execz .LBB18_16
; %bb.28:                               ;   in Loop: Header=BB18_22 Depth=2
	v_add_u32_e32 v12, 3, v13
	v_and_b32_e32 v12, 0x1ff, v12
	v_lshl_add_u32 v14, v12, 2, v18
	ds_read_b32 v13, v14
	s_mov_b64 s[52:53], -1
	s_mov_b64 s[50:51], -1
	s_waitcnt lgkmcnt(0)
	v_cmp_ne_u32_e32 vcc, v13, v9
                                        ; implicit-def: $vgpr13
	s_and_saveexec_b64 s[48:49], vcc
	s_cbranch_execz .LBB18_15
; %bb.29:                               ;   in Loop: Header=BB18_22 Depth=2
	ds_cmpst_rtn_b32 v13, v14, v10, v9
	s_mov_b64 s[50:51], 0
	s_waitcnt lgkmcnt(0)
	v_cmp_ne_u32_e32 vcc, -1, v13
                                        ; implicit-def: $vgpr13
	s_and_saveexec_b64 s[54:55], vcc
	s_cbranch_execz .LBB18_14
; %bb.30:                               ;   in Loop: Header=BB18_22 Depth=2
	v_add_u32_e32 v11, -4, v11
	v_cmp_eq_u32_e32 vcc, 0, v11
	s_mov_b64 s[50:51], exec
	v_add_u32_e32 v13, 1, v12
	s_orn2_b64 s[52:53], vcc, exec
	s_branch .LBB18_14
.LBB18_31:                              ;   in Loop: Header=BB18_13 Depth=1
	s_or_b64 exec, exec, s[24:25]
	s_xor_b64 s[22:23], s[22:23], -1
	s_and_saveexec_b64 s[24:25], s[22:23]
	s_xor_b64 s[22:23], exec, s[24:25]
	s_cbranch_execz .LBB18_12
; %bb.32:                               ;   in Loop: Header=BB18_13 Depth=1
	v_lshl_add_u32 v9, v12, 2, v7
	ds_write_b32 v9, v8
	s_branch .LBB18_12
.LBB18_33:
	s_or_b64 exec, exec, s[2:3]
	s_waitcnt vmcnt(0)
	v_cmp_lt_i32_e32 vcc, v0, v6
	s_waitcnt lgkmcnt(0)
	s_and_saveexec_b64 s[2:3], vcc
	s_cbranch_execz .LBB18_63
; %bb.34:
	v_add_u32_e32 v19, 1, v16
	s_mov_b64 s[14:15], 0
	s_movk_i32 s29, 0x67
	s_branch .LBB18_37
.LBB18_35:                              ;   in Loop: Header=BB18_37 Depth=1
	s_or_b64 exec, exec, s[24:25]
	v_add_u32_e32 v0, 1, v0
	v_cmp_ge_i32_e32 vcc, v0, v6
	s_orn2_b64 s[24:25], vcc, exec
.LBB18_36:                              ;   in Loop: Header=BB18_37 Depth=1
	s_or_b64 exec, exec, s[22:23]
	s_and_b64 s[22:23], exec, s[24:25]
	s_or_b64 s[14:15], s[22:23], s[14:15]
	s_andn2_b64 exec, exec, s[14:15]
	s_cbranch_execz .LBB18_63
.LBB18_37:                              ; =>This Loop Header: Depth=1
                                        ;     Child Loop BB18_38 Depth 2
                                        ;     Child Loop BB18_43 Depth 2
                                        ;       Child Loop BB18_52 Depth 3
	v_ashrrev_i32_e32 v1, 31, v0
	v_lshl_add_u64 v[8:9], v[0:1], 2, s[6:7]
	global_load_dword v12, v[8:9], off
	v_lshl_add_u64 v[10:11], v[0:1], 3, s[8:9]
	global_load_dwordx2 v[8:9], v[10:11], off
	s_mov_b64 s[22:23], 0
	s_waitcnt vmcnt(1)
	v_subrev_u32_e32 v12, s28, v12
	v_ashrrev_i32_e32 v13, 31, v12
	v_lshlrev_b64 v[12:13], 2, v[12:13]
	v_lshl_add_u64 v[20:21], s[4:5], 0, v[12:13]
	v_lshl_add_u64 v[24:25], s[10:11], 0, v[12:13]
	global_load_dword v1, v[20:21], off offset:4
	global_load_dword v14, v[24:25], off
	v_lshl_add_u64 v[12:13], s[12:13], 0, v[12:13]
.LBB18_38:                              ;   Parent Loop BB18_37 Depth=1
                                        ; =>  This Inner Loop Header: Depth=2
	global_load_dword v15, v[12:13], off sc1
	s_waitcnt vmcnt(0)
	v_cmp_ne_u32_e32 vcc, 0, v15
	s_or_b64 s[22:23], vcc, s[22:23]
	s_andn2_b64 exec, exec, s[22:23]
	s_cbranch_execnz .LBB18_38
; %bb.39:                               ;   in Loop: Header=BB18_37 Depth=1
	s_or_b64 exec, exec, s[22:23]
	v_subrev_u32_e32 v1, s28, v1
	v_add_u32_e32 v12, -1, v1
	v_cmp_eq_u32_e32 vcc, -1, v14
	buffer_inv sc1
	s_mov_b64 s[24:25], -1
	v_cndmask_b32_e32 v12, v14, v12, vcc
	v_ashrrev_i32_e32 v13, 31, v12
	v_lshl_add_u64 v[14:15], v[12:13], 3, s[8:9]
	global_load_dwordx2 v[14:15], v[14:15], off
	s_waitcnt vmcnt(0)
	v_cmp_neq_f64_e32 vcc, 0, v[14:15]
	s_and_saveexec_b64 s[22:23], vcc
	s_cbranch_execz .LBB18_36
; %bb.40:                               ;   in Loop: Header=BB18_37 Depth=1
	v_div_scale_f64 v[20:21], s[24:25], v[14:15], v[14:15], v[8:9]
	v_rcp_f64_e32 v[24:25], v[20:21]
	v_div_scale_f64 v[26:27], vcc, v[8:9], v[14:15], v[8:9]
	v_fma_f64 v[28:29], -v[20:21], v[24:25], 1.0
	v_fmac_f64_e32 v[24:25], v[24:25], v[28:29]
	v_fma_f64 v[28:29], -v[20:21], v[24:25], 1.0
	v_fmac_f64_e32 v[24:25], v[24:25], v[28:29]
	v_mul_f64 v[28:29], v[26:27], v[24:25]
	v_fma_f64 v[20:21], -v[20:21], v[28:29], v[26:27]
	v_div_fmas_f64 v[20:21], v[20:21], v[24:25], v[28:29]
	v_div_fixup_f64 v[8:9], v[20:21], v[14:15], v[8:9]
	global_store_dwordx2 v[10:11], v[8:9], off
	v_add_u32_e32 v10, v19, v12
	v_cmp_lt_i32_e32 vcc, v10, v1
	s_and_saveexec_b64 s[24:25], vcc
	s_cbranch_execz .LBB18_35
; %bb.41:                               ;   in Loop: Header=BB18_37 Depth=1
	s_mov_b64 s[26:27], 0
	s_branch .LBB18_43
.LBB18_42:                              ;   in Loop: Header=BB18_43 Depth=2
	s_or_b64 exec, exec, s[34:35]
	v_add_u32_e32 v10, 32, v10
	v_cmp_ge_i32_e32 vcc, v10, v1
	s_or_b64 s[26:27], vcc, s[26:27]
	s_andn2_b64 exec, exec, s[26:27]
	s_cbranch_execz .LBB18_35
.LBB18_43:                              ;   Parent Loop BB18_37 Depth=1
                                        ; =>  This Loop Header: Depth=2
                                        ;       Child Loop BB18_52 Depth 3
	v_ashrrev_i32_e32 v11, 31, v10
	v_lshl_add_u64 v[12:13], v[10:11], 2, s[6:7]
	global_load_dword v12, v[12:13], off
	v_mov_b32_e32 v13, 0x200
	s_mov_b64 s[36:37], 0
                                        ; implicit-def: $sgpr34_sgpr35
                                        ; implicit-def: $sgpr38_sgpr39
                                        ; implicit-def: $sgpr40_sgpr41
	s_waitcnt vmcnt(0)
	v_mul_lo_u32 v15, v12, s29
	s_branch .LBB18_52
.LBB18_44:                              ;   in Loop: Header=BB18_52 Depth=3
	s_or_b64 exec, exec, s[60:61]
	s_orn2_b64 s[56:57], s[56:57], exec
	s_orn2_b64 s[58:59], s[58:59], exec
.LBB18_45:                              ;   in Loop: Header=BB18_52 Depth=3
	s_or_b64 exec, exec, s[54:55]
	s_and_b64 s[56:57], s[56:57], exec
	s_orn2_b64 s[54:55], s[58:59], exec
.LBB18_46:                              ;   in Loop: Header=BB18_52 Depth=3
	s_or_b64 exec, exec, s[52:53]
	s_orn2_b64 s[56:57], s[56:57], exec
	s_orn2_b64 s[52:53], s[54:55], exec
.LBB18_47:                              ;   in Loop: Header=BB18_52 Depth=3
	s_or_b64 exec, exec, s[50:51]
	s_and_b64 s[54:55], s[56:57], exec
	s_orn2_b64 s[50:51], s[52:53], exec
.LBB18_48:                              ;   in Loop: Header=BB18_52 Depth=3
	s_or_b64 exec, exec, s[48:49]
	s_orn2_b64 s[48:49], s[54:55], exec
	s_orn2_b64 s[50:51], s[50:51], exec
.LBB18_49:                              ;   in Loop: Header=BB18_52 Depth=3
	s_or_b64 exec, exec, s[46:47]
	s_and_b64 s[48:49], s[48:49], exec
	s_orn2_b64 s[46:47], s[50:51], exec
.LBB18_50:                              ;   in Loop: Header=BB18_52 Depth=3
	s_or_b64 exec, exec, s[44:45]
	s_andn2_b64 s[40:41], s[40:41], exec
	s_and_b64 s[44:45], s[48:49], exec
	s_or_b64 s[40:41], s[40:41], s[44:45]
	s_andn2_b64 s[38:39], s[38:39], exec
	s_and_b64 s[44:45], s[46:47], exec
	s_or_b64 s[38:39], s[38:39], s[44:45]
.LBB18_51:                              ;   in Loop: Header=BB18_52 Depth=3
	s_or_b64 exec, exec, s[42:43]
	s_and_b64 s[42:43], exec, s[38:39]
	s_or_b64 s[36:37], s[42:43], s[36:37]
	s_andn2_b64 s[34:35], s[34:35], exec
	s_and_b64 s[42:43], s[40:41], exec
	s_or_b64 s[34:35], s[34:35], s[42:43]
	s_andn2_b64 exec, exec, s[36:37]
	s_cbranch_execz .LBB18_61
.LBB18_52:                              ;   Parent Loop BB18_37 Depth=1
                                        ;     Parent Loop BB18_43 Depth=2
                                        ; =>    This Inner Loop Header: Depth=3
	v_and_b32_e32 v14, 0x1ff, v15
	v_lshl_add_u32 v20, v14, 2, v18
	ds_read_b32 v20, v20
	s_or_b64 s[40:41], s[40:41], exec
	s_or_b64 s[38:39], s[38:39], exec
	s_waitcnt lgkmcnt(0)
	v_cmp_ne_u32_e32 vcc, -1, v20
	s_and_saveexec_b64 s[42:43], vcc
	s_cbranch_execz .LBB18_51
; %bb.53:                               ;   in Loop: Header=BB18_52 Depth=3
	v_cmp_ne_u32_e32 vcc, v20, v12
	s_mov_b64 s[46:47], -1
	s_mov_b64 s[48:49], 0
	s_and_saveexec_b64 s[44:45], vcc
	s_cbranch_execz .LBB18_50
; %bb.54:                               ;   in Loop: Header=BB18_52 Depth=3
	v_add_u32_e32 v14, 1, v15
	v_and_b32_e32 v14, 0x1ff, v14
	v_lshl_add_u32 v20, v14, 2, v18
	ds_read_b32 v20, v20
	s_mov_b64 s[50:51], -1
	s_mov_b64 s[48:49], -1
	s_waitcnt lgkmcnt(0)
	v_cmp_ne_u32_e32 vcc, -1, v20
	s_and_saveexec_b64 s[46:47], vcc
	s_cbranch_execz .LBB18_49
; %bb.55:                               ;   in Loop: Header=BB18_52 Depth=3
	v_cmp_ne_u32_e32 vcc, v20, v12
	s_mov_b64 s[54:55], 0
	s_and_saveexec_b64 s[48:49], vcc
	s_cbranch_execz .LBB18_48
; %bb.56:                               ;   in Loop: Header=BB18_52 Depth=3
	v_add_u32_e32 v14, 2, v15
	v_and_b32_e32 v14, 0x1ff, v14
	v_lshl_add_u32 v20, v14, 2, v18
	ds_read_b32 v20, v20
	s_mov_b64 s[52:53], -1
	s_mov_b64 s[56:57], -1
	s_waitcnt lgkmcnt(0)
	v_cmp_ne_u32_e32 vcc, -1, v20
	s_and_saveexec_b64 s[50:51], vcc
	s_cbranch_execz .LBB18_47
; %bb.57:                               ;   in Loop: Header=BB18_52 Depth=3
	v_cmp_ne_u32_e32 vcc, v20, v12
	s_mov_b64 s[54:55], -1
	s_mov_b64 s[56:57], 0
	s_and_saveexec_b64 s[52:53], vcc
	s_cbranch_execz .LBB18_46
; %bb.58:                               ;   in Loop: Header=BB18_52 Depth=3
	v_add_u32_e32 v14, 3, v15
	v_and_b32_e32 v14, 0x1ff, v14
	v_lshl_add_u32 v15, v14, 2, v18
	ds_read_b32 v20, v15
	s_mov_b64 s[58:59], -1
	s_mov_b64 s[56:57], -1
                                        ; implicit-def: $vgpr15
	s_waitcnt lgkmcnt(0)
	v_cmp_ne_u32_e32 vcc, -1, v20
	s_and_saveexec_b64 s[54:55], vcc
	s_cbranch_execz .LBB18_45
; %bb.59:                               ;   in Loop: Header=BB18_52 Depth=3
	v_cmp_ne_u32_e32 vcc, v20, v12
	s_mov_b64 s[56:57], 0
                                        ; implicit-def: $vgpr15
	s_and_saveexec_b64 s[60:61], vcc
	s_cbranch_execz .LBB18_44
; %bb.60:                               ;   in Loop: Header=BB18_52 Depth=3
	v_add_u32_e32 v13, -4, v13
	v_cmp_eq_u32_e32 vcc, 0, v13
	s_mov_b64 s[56:57], exec
	v_add_u32_e32 v15, 1, v14
	s_orn2_b64 s[58:59], vcc, exec
	s_branch .LBB18_44
.LBB18_61:                              ;   in Loop: Header=BB18_43 Depth=2
	s_or_b64 exec, exec, s[36:37]
	s_xor_b64 s[34:35], s[34:35], -1
	s_and_saveexec_b64 s[36:37], s[34:35]
	s_xor_b64 s[34:35], exec, s[36:37]
	s_cbranch_execz .LBB18_42
; %bb.62:                               ;   in Loop: Header=BB18_43 Depth=2
	v_lshl_add_u32 v12, v14, 2, v7
	ds_read_b32 v12, v12
	v_lshl_add_u64 v[14:15], v[10:11], 3, s[8:9]
	s_waitcnt lgkmcnt(0)
	v_ashrrev_i32_e32 v13, 31, v12
	v_lshl_add_u64 v[12:13], v[12:13], 3, s[8:9]
	global_load_dwordx2 v[20:21], v[14:15], off
	global_load_dwordx2 v[24:25], v[12:13], off
	s_waitcnt vmcnt(0)
	v_fma_f64 v[14:15], -v[8:9], v[20:21], v[24:25]
	global_store_dwordx2 v[12:13], v[14:15], off
	s_branch .LBB18_42
.LBB18_63:
	s_or_b64 exec, exec, s[2:3]
	v_cmp_lt_i32_e32 vcc, -1, v6
	s_and_saveexec_b64 s[6:7], vcc
	s_cbranch_execz .LBB18_79
; %bb.64:
	v_mov_b32_e32 v7, 0
	v_lshl_add_u64 v[8:9], v[6:7], 3, s[8:9]
	global_load_dwordx2 v[0:1], v[8:9], off
	v_cmp_eq_u32_e64 s[2:3], 0, v16
	s_andn2_b64 vcc, exec, s[30:31]
	s_waitcnt vmcnt(0)
	v_xor_b32_e32 v7, 0x80000000, v1
	v_cmp_gt_f64_e64 s[4:5], 0, v[0:1]
	v_mov_b32_e32 v6, v0
	s_nop 0
	v_cndmask_b32_e64 v7, v1, v7, s[4:5]
	s_mov_b64 s[4:5], -1
	s_cbranch_vccnz .LBB18_68
; %bb.65:
	s_cmp_eq_u64 s[20:21], 8
	v_cvt_f64_f32_e32 v[10:11], v17
	s_cselect_b64 vcc, -1, 0
	v_cndmask_b32_e32 v5, v11, v5, vcc
	v_cndmask_b32_e32 v4, v10, v4, vcc
	v_cmp_le_f64_e32 vcc, v[6:7], v[4:5]
	s_and_b64 s[8:9], s[2:3], vcc
	s_and_saveexec_b64 s[4:5], s[8:9]
	s_cbranch_execz .LBB18_67
; %bb.66:
	global_store_dwordx2 v[8:9], v[22:23], off
	buffer_wbl2 sc1
	s_waitcnt vmcnt(0)
	buffer_inv sc1
.LBB18_67:
	s_or_b64 exec, exec, s[4:5]
	s_mov_b64 s[4:5], 0
.LBB18_68:
	s_andn2_b64 vcc, exec, s[4:5]
	s_cbranch_vccnz .LBB18_79
; %bb.69:
	s_load_dwordx2 s[0:1], s[0:1], 0x48
	v_add_u32_e32 v4, s28, v2
	s_waitcnt lgkmcnt(0)
	v_cmp_ge_f64_e32 vcc, s[0:1], v[6:7]
	s_and_b64 s[4:5], s[2:3], vcc
	s_and_saveexec_b64 s[0:1], s[4:5]
	s_cbranch_execz .LBB18_74
; %bb.70:
	s_mov_b64 s[4:5], exec
	s_brev_b32 s8, -2
.LBB18_71:                              ; =>This Inner Loop Header: Depth=1
	s_ff1_i32_b64 s9, s[4:5]
	v_readlane_b32 s14, v4, s9
	s_lshl_b64 s[10:11], 1, s9
	s_min_i32 s8, s8, s14
	s_andn2_b64 s[4:5], s[4:5], s[10:11]
	s_cmp_lg_u64 s[4:5], 0
	s_cbranch_scc1 .LBB18_71
; %bb.72:
	v_mbcnt_lo_u32_b32 v5, exec_lo, 0
	v_mbcnt_hi_u32_b32 v5, exec_hi, v5
	v_cmp_eq_u32_e32 vcc, 0, v5
	s_and_saveexec_b64 s[4:5], vcc
	s_xor_b64 s[4:5], exec, s[4:5]
	s_cbranch_execz .LBB18_74
; %bb.73:
	v_mov_b32_e32 v5, 0
	v_mov_b32_e32 v6, s8
	global_atomic_smin v5, v6, s[18:19]
.LBB18_74:
	s_or_b64 exec, exec, s[0:1]
	v_cmp_eq_f64_e32 vcc, 0, v[0:1]
	s_and_b64 s[0:1], s[2:3], vcc
	s_and_b64 exec, exec, s[0:1]
	s_cbranch_execz .LBB18_79
; %bb.75:
	s_mov_b64 s[0:1], exec
	s_brev_b32 s2, -2
.LBB18_76:                              ; =>This Inner Loop Header: Depth=1
	s_ff1_i32_b64 s3, s[0:1]
	v_readlane_b32 s8, v4, s3
	s_lshl_b64 s[4:5], 1, s3
	s_min_i32 s2, s2, s8
	s_andn2_b64 s[0:1], s[0:1], s[4:5]
	s_cmp_lg_u64 s[0:1], 0
	s_cbranch_scc1 .LBB18_76
; %bb.77:
	v_mbcnt_lo_u32_b32 v0, exec_lo, 0
	v_mbcnt_hi_u32_b32 v0, exec_hi, v0
	v_cmp_eq_u32_e32 vcc, 0, v0
	s_and_saveexec_b64 s[0:1], vcc
	s_xor_b64 s[0:1], exec, s[0:1]
	s_cbranch_execz .LBB18_79
; %bb.78:
	v_mov_b32_e32 v0, 0
	v_mov_b32_e32 v1, s2
	global_atomic_smin v0, v1, s[16:17]
.LBB18_79:
	s_or_b64 exec, exec, s[6:7]
	v_cmp_eq_u32_e32 vcc, 0, v16
	buffer_wbl2 sc1
	s_waitcnt vmcnt(0)
	buffer_inv sc1
	s_and_b64 exec, exec, vcc
	s_cbranch_execz .LBB18_81
; %bb.80:
	v_lshl_add_u64 v[0:1], v[2:3], 2, s[12:13]
	v_mov_b32_e32 v2, 1
	buffer_wbl2 sc1
	global_store_dword v[0:1], v2, off sc1
.LBB18_81:
	s_endpgm
	.section	.rodata,"a",@progbits
	.p2align	6, 0x0
	.amdhsa_kernel _ZN9rocsparseL12csrilu0_hashILj256ELj32ELj16EdEEviPKiS2_PT2_S2_PiS2_S5_S5_d21rocsparse_index_base_imNS_24const_host_device_scalarIfEENS7_IdEENS7_IS3_EEb
		.amdhsa_group_segment_fixed_size 32768
		.amdhsa_private_segment_fixed_size 0
		.amdhsa_kernarg_size 124
		.amdhsa_user_sgpr_count 2
		.amdhsa_user_sgpr_dispatch_ptr 0
		.amdhsa_user_sgpr_queue_ptr 0
		.amdhsa_user_sgpr_kernarg_segment_ptr 1
		.amdhsa_user_sgpr_dispatch_id 0
		.amdhsa_user_sgpr_kernarg_preload_length 0
		.amdhsa_user_sgpr_kernarg_preload_offset 0
		.amdhsa_user_sgpr_private_segment_size 0
		.amdhsa_uses_dynamic_stack 0
		.amdhsa_enable_private_segment 0
		.amdhsa_system_sgpr_workgroup_id_x 1
		.amdhsa_system_sgpr_workgroup_id_y 0
		.amdhsa_system_sgpr_workgroup_id_z 0
		.amdhsa_system_sgpr_workgroup_info 0
		.amdhsa_system_vgpr_workitem_id 0
		.amdhsa_next_free_vgpr 81
		.amdhsa_next_free_sgpr 96
		.amdhsa_accum_offset 32
		.amdhsa_reserve_vcc 1
		.amdhsa_float_round_mode_32 0
		.amdhsa_float_round_mode_16_64 0
		.amdhsa_float_denorm_mode_32 3
		.amdhsa_float_denorm_mode_16_64 3
		.amdhsa_dx10_clamp 1
		.amdhsa_ieee_mode 1
		.amdhsa_fp16_overflow 0
		.amdhsa_tg_split 0
		.amdhsa_exception_fp_ieee_invalid_op 0
		.amdhsa_exception_fp_denorm_src 0
		.amdhsa_exception_fp_ieee_div_zero 0
		.amdhsa_exception_fp_ieee_overflow 0
		.amdhsa_exception_fp_ieee_underflow 0
		.amdhsa_exception_fp_ieee_inexact 0
		.amdhsa_exception_int_div_zero 0
	.end_amdhsa_kernel
	.section	.text._ZN9rocsparseL12csrilu0_hashILj256ELj32ELj16EdEEviPKiS2_PT2_S2_PiS2_S5_S5_d21rocsparse_index_base_imNS_24const_host_device_scalarIfEENS7_IdEENS7_IS3_EEb,"axG",@progbits,_ZN9rocsparseL12csrilu0_hashILj256ELj32ELj16EdEEviPKiS2_PT2_S2_PiS2_S5_S5_d21rocsparse_index_base_imNS_24const_host_device_scalarIfEENS7_IdEENS7_IS3_EEb,comdat
.Lfunc_end18:
	.size	_ZN9rocsparseL12csrilu0_hashILj256ELj32ELj16EdEEviPKiS2_PT2_S2_PiS2_S5_S5_d21rocsparse_index_base_imNS_24const_host_device_scalarIfEENS7_IdEENS7_IS3_EEb, .Lfunc_end18-_ZN9rocsparseL12csrilu0_hashILj256ELj32ELj16EdEEviPKiS2_PT2_S2_PiS2_S5_S5_d21rocsparse_index_base_imNS_24const_host_device_scalarIfEENS7_IdEENS7_IS3_EEb
                                        ; -- End function
	.set _ZN9rocsparseL12csrilu0_hashILj256ELj32ELj16EdEEviPKiS2_PT2_S2_PiS2_S5_S5_d21rocsparse_index_base_imNS_24const_host_device_scalarIfEENS7_IdEENS7_IS3_EEb.num_vgpr, 30
	.set _ZN9rocsparseL12csrilu0_hashILj256ELj32ELj16EdEEviPKiS2_PT2_S2_PiS2_S5_S5_d21rocsparse_index_base_imNS_24const_host_device_scalarIfEENS7_IdEENS7_IS3_EEb.num_agpr, 0
	.set _ZN9rocsparseL12csrilu0_hashILj256ELj32ELj16EdEEviPKiS2_PT2_S2_PiS2_S5_S5_d21rocsparse_index_base_imNS_24const_host_device_scalarIfEENS7_IdEENS7_IS3_EEb.numbered_sgpr, 62
	.set _ZN9rocsparseL12csrilu0_hashILj256ELj32ELj16EdEEviPKiS2_PT2_S2_PiS2_S5_S5_d21rocsparse_index_base_imNS_24const_host_device_scalarIfEENS7_IdEENS7_IS3_EEb.num_named_barrier, 0
	.set _ZN9rocsparseL12csrilu0_hashILj256ELj32ELj16EdEEviPKiS2_PT2_S2_PiS2_S5_S5_d21rocsparse_index_base_imNS_24const_host_device_scalarIfEENS7_IdEENS7_IS3_EEb.private_seg_size, 0
	.set _ZN9rocsparseL12csrilu0_hashILj256ELj32ELj16EdEEviPKiS2_PT2_S2_PiS2_S5_S5_d21rocsparse_index_base_imNS_24const_host_device_scalarIfEENS7_IdEENS7_IS3_EEb.uses_vcc, 1
	.set _ZN9rocsparseL12csrilu0_hashILj256ELj32ELj16EdEEviPKiS2_PT2_S2_PiS2_S5_S5_d21rocsparse_index_base_imNS_24const_host_device_scalarIfEENS7_IdEENS7_IS3_EEb.uses_flat_scratch, 0
	.set _ZN9rocsparseL12csrilu0_hashILj256ELj32ELj16EdEEviPKiS2_PT2_S2_PiS2_S5_S5_d21rocsparse_index_base_imNS_24const_host_device_scalarIfEENS7_IdEENS7_IS3_EEb.has_dyn_sized_stack, 0
	.set _ZN9rocsparseL12csrilu0_hashILj256ELj32ELj16EdEEviPKiS2_PT2_S2_PiS2_S5_S5_d21rocsparse_index_base_imNS_24const_host_device_scalarIfEENS7_IdEENS7_IS3_EEb.has_recursion, 0
	.set _ZN9rocsparseL12csrilu0_hashILj256ELj32ELj16EdEEviPKiS2_PT2_S2_PiS2_S5_S5_d21rocsparse_index_base_imNS_24const_host_device_scalarIfEENS7_IdEENS7_IS3_EEb.has_indirect_call, 0
	.section	.AMDGPU.csdata,"",@progbits
; Kernel info:
; codeLenInByte = 2500
; TotalNumSgprs: 68
; NumVgprs: 30
; NumAgprs: 0
; TotalNumVgprs: 30
; ScratchSize: 0
; MemoryBound: 0
; FloatMode: 240
; IeeeMode: 1
; LDSByteSize: 32768 bytes/workgroup (compile time only)
; SGPRBlocks: 12
; VGPRBlocks: 10
; NumSGPRsForWavesPerEU: 102
; NumVGPRsForWavesPerEU: 81
; AccumOffset: 32
; Occupancy: 5
; WaveLimiterHint : 1
; COMPUTE_PGM_RSRC2:SCRATCH_EN: 0
; COMPUTE_PGM_RSRC2:USER_SGPR: 2
; COMPUTE_PGM_RSRC2:TRAP_HANDLER: 0
; COMPUTE_PGM_RSRC2:TGID_X_EN: 1
; COMPUTE_PGM_RSRC2:TGID_Y_EN: 0
; COMPUTE_PGM_RSRC2:TGID_Z_EN: 0
; COMPUTE_PGM_RSRC2:TIDIG_COMP_CNT: 0
; COMPUTE_PGM_RSRC3_GFX90A:ACCUM_OFFSET: 7
; COMPUTE_PGM_RSRC3_GFX90A:TG_SPLIT: 0
	.section	.text._ZN9rocsparseL17csrilu0_binsearchILj256ELj32ELb0EdEEviPKiS2_PT2_S2_PiS2_S5_S5_d21rocsparse_index_base_imNS_24const_host_device_scalarIfEENS7_IdEENS7_IS3_EEb,"axG",@progbits,_ZN9rocsparseL17csrilu0_binsearchILj256ELj32ELb0EdEEviPKiS2_PT2_S2_PiS2_S5_S5_d21rocsparse_index_base_imNS_24const_host_device_scalarIfEENS7_IdEENS7_IS3_EEb,comdat
	.globl	_ZN9rocsparseL17csrilu0_binsearchILj256ELj32ELb0EdEEviPKiS2_PT2_S2_PiS2_S5_S5_d21rocsparse_index_base_imNS_24const_host_device_scalarIfEENS7_IdEENS7_IS3_EEb ; -- Begin function _ZN9rocsparseL17csrilu0_binsearchILj256ELj32ELb0EdEEviPKiS2_PT2_S2_PiS2_S5_S5_d21rocsparse_index_base_imNS_24const_host_device_scalarIfEENS7_IdEENS7_IS3_EEb
	.p2align	8
	.type	_ZN9rocsparseL17csrilu0_binsearchILj256ELj32ELb0EdEEviPKiS2_PT2_S2_PiS2_S5_S5_d21rocsparse_index_base_imNS_24const_host_device_scalarIfEENS7_IdEENS7_IS3_EEb,@function
_ZN9rocsparseL17csrilu0_binsearchILj256ELj32ELb0EdEEviPKiS2_PT2_S2_PiS2_S5_S5_d21rocsparse_index_base_imNS_24const_host_device_scalarIfEENS7_IdEENS7_IS3_EEb: ; @_ZN9rocsparseL17csrilu0_binsearchILj256ELj32ELb0EdEEviPKiS2_PT2_S2_PiS2_S5_S5_d21rocsparse_index_base_imNS_24const_host_device_scalarIfEENS7_IdEENS7_IS3_EEb
; %bb.0:
	s_load_dword s3, s[0:1], 0x78
	s_load_dwordx2 s[28:29], s[0:1], 0x50
	s_load_dwordx8 s[20:27], s[0:1], 0x58
	s_waitcnt lgkmcnt(0)
	s_bitcmp1_b32 s3, 0
	s_cselect_b64 s[4:5], -1, 0
	s_cmp_eq_u32 s29, 0
	s_cselect_b64 s[6:7], -1, 0
	s_cmp_lg_u32 s29, 0
	s_cselect_b64 s[30:31], -1, 0
	s_or_b64 s[4:5], s[6:7], s[4:5]
	s_xor_b64 s[8:9], s[4:5], -1
	s_and_b64 s[10:11], s[6:7], exec
	s_cselect_b32 s11, 0, s25
	s_cselect_b32 s10, 0, s24
	s_and_b64 vcc, exec, s[4:5]
	s_cbranch_vccnz .LBB19_2
; %bb.1:
	s_load_dword s3, s[22:23], 0x0
	s_mov_b64 s[10:11], s[24:25]
	s_waitcnt lgkmcnt(0)
	v_mov_b32_e32 v17, s3
	s_branch .LBB19_3
.LBB19_2:
	v_mov_b32_e32 v1, s22
	v_cndmask_b32_e64 v17, v1, 0, s[6:7]
.LBB19_3:
	v_cndmask_b32_e64 v1, 0, 1, s[8:9]
	v_cmp_ne_u32_e64 s[4:5], 1, v1
	s_andn2_b64 vcc, exec, s[8:9]
	v_mov_b64_e32 v[4:5], s[10:11]
	s_cbranch_vccnz .LBB19_5
; %bb.4:
	v_mov_b64_e32 v[2:3], s[24:25]
	flat_load_dwordx2 v[4:5], v[2:3]
.LBB19_5:
	s_and_b64 s[6:7], s[6:7], exec
	s_cselect_b32 s7, 0, s27
	s_cselect_b32 s6, 0, s26
	s_and_b64 vcc, exec, s[4:5]
	v_mov_b64_e32 v[20:21], s[6:7]
	s_cbranch_vccnz .LBB19_7
; %bb.6:
	v_mov_b64_e32 v[2:3], s[26:27]
	flat_load_dwordx2 v[20:21], v[2:3]
.LBB19_7:
	s_load_dword s3, s[0:1], 0x0
	s_lshl_b32 s2, s2, 3
	v_lshrrev_b32_e32 v1, 5, v0
	s_and_b32 s2, s2, 0x7fffff8
	v_or_b32_e32 v1, s2, v1
	s_waitcnt lgkmcnt(0)
	v_cmp_gt_i32_e32 vcc, s3, v1
	s_and_saveexec_b64 s[2:3], vcc
	s_cbranch_execz .LBB19_43
; %bb.8:
	s_load_dwordx16 s[4:19], s[0:1], 0x8
	v_lshlrev_b32_e32 v1, 2, v1
	v_and_b32_e32 v16, 31, v0
	s_waitcnt lgkmcnt(0)
	global_load_dword v2, v1, s[14:15]
	s_waitcnt vmcnt(0)
	v_ashrrev_i32_e32 v3, 31, v2
	v_lshlrev_b64 v[6:7], 2, v[2:3]
	v_lshl_add_u64 v[8:9], s[4:5], 0, v[6:7]
	v_lshl_add_u64 v[10:11], s[10:11], 0, v[6:7]
	global_load_dword v1, v[8:9], off
	global_load_dword v6, v[10:11], off
	s_waitcnt vmcnt(1)
	v_subrev_u32_e32 v0, s28, v1
	s_waitcnt vmcnt(0)
	v_cmp_lt_i32_e32 vcc, v0, v6
	s_and_saveexec_b64 s[2:3], vcc
	s_cbranch_execz .LBB19_25
; %bb.9:
	global_load_dword v1, v[8:9], off offset:4
	v_add_u32_e32 v7, 1, v16
	s_mov_b64 s[14:15], 0
	s_waitcnt vmcnt(0)
	v_xad_u32 v18, s28, -1, v1
	s_branch .LBB19_12
.LBB19_10:                              ;   in Loop: Header=BB19_12 Depth=1
	s_or_b64 exec, exec, s[24:25]
	v_cmp_ge_i32_e32 vcc, v0, v6
	s_orn2_b64 s[24:25], vcc, exec
.LBB19_11:                              ;   in Loop: Header=BB19_12 Depth=1
	s_or_b64 exec, exec, s[22:23]
	s_and_b64 s[22:23], exec, s[24:25]
	s_or_b64 s[14:15], s[22:23], s[14:15]
	s_andn2_b64 exec, exec, s[14:15]
	s_cbranch_execz .LBB19_25
.LBB19_12:                              ; =>This Loop Header: Depth=1
                                        ;     Child Loop BB19_14 Depth 2
                                        ;     Child Loop BB19_19 Depth 2
                                        ;       Child Loop BB19_21 Depth 3
	v_ashrrev_i32_e32 v1, 31, v0
	v_lshl_add_u64 v[8:9], v[0:1], 2, s[6:7]
	global_load_dword v12, v[8:9], off
	v_lshl_add_u64 v[10:11], v[0:1], 3, s[8:9]
	global_load_dwordx2 v[8:9], v[10:11], off
	s_waitcnt vmcnt(1)
	v_subrev_u32_e32 v12, s28, v12
	v_ashrrev_i32_e32 v13, 31, v12
	v_lshlrev_b64 v[12:13], 2, v[12:13]
	v_lshl_add_u64 v[22:23], s[4:5], 0, v[12:13]
	v_lshl_add_u64 v[24:25], s[10:11], 0, v[12:13]
	;; [unrolled: 1-line block ×3, first 2 shown]
	global_load_dword v1, v[22:23], off offset:4
	global_load_dword v14, v[24:25], off
	global_load_dword v15, v[12:13], off sc1
	s_waitcnt vmcnt(0)
	v_cmp_eq_u32_e32 vcc, 0, v15
	s_and_saveexec_b64 s[22:23], vcc
	s_cbranch_execz .LBB19_15
; %bb.13:                               ;   in Loop: Header=BB19_12 Depth=1
	s_mov_b64 s[24:25], 0
.LBB19_14:                              ;   Parent Loop BB19_12 Depth=1
                                        ; =>  This Inner Loop Header: Depth=2
	global_load_dword v15, v[12:13], off sc1
	s_waitcnt vmcnt(0)
	v_cmp_ne_u32_e32 vcc, 0, v15
	s_or_b64 s[24:25], vcc, s[24:25]
	s_andn2_b64 exec, exec, s[24:25]
	s_cbranch_execnz .LBB19_14
.LBB19_15:                              ;   in Loop: Header=BB19_12 Depth=1
	s_or_b64 exec, exec, s[22:23]
	v_subrev_u32_e32 v1, s28, v1
	v_add_u32_e32 v12, -1, v1
	v_cmp_eq_u32_e32 vcc, -1, v14
	buffer_inv sc1
	s_mov_b64 s[24:25], -1
	v_cndmask_b32_e32 v12, v14, v12, vcc
	v_ashrrev_i32_e32 v13, 31, v12
	v_lshl_add_u64 v[14:15], v[12:13], 3, s[8:9]
	global_load_dwordx2 v[14:15], v[14:15], off
	s_waitcnt vmcnt(0)
	v_cmp_neq_f64_e32 vcc, 0, v[14:15]
	s_and_saveexec_b64 s[22:23], vcc
	s_xor_b64 s[22:23], exec, s[22:23]
	s_cbranch_execz .LBB19_11
; %bb.16:                               ;   in Loop: Header=BB19_12 Depth=1
	v_div_scale_f64 v[22:23], s[24:25], v[14:15], v[14:15], v[8:9]
	v_rcp_f64_e32 v[24:25], v[22:23]
	v_div_scale_f64 v[26:27], vcc, v[8:9], v[14:15], v[8:9]
	v_add_u32_e32 v0, 1, v0
	v_fma_f64 v[28:29], -v[22:23], v[24:25], 1.0
	v_fmac_f64_e32 v[24:25], v[24:25], v[28:29]
	v_fma_f64 v[28:29], -v[22:23], v[24:25], 1.0
	v_fmac_f64_e32 v[24:25], v[24:25], v[28:29]
	v_mul_f64 v[28:29], v[26:27], v[24:25]
	v_fma_f64 v[22:23], -v[22:23], v[28:29], v[26:27]
	v_div_fmas_f64 v[22:23], v[22:23], v[24:25], v[28:29]
	v_div_fixup_f64 v[8:9], v[22:23], v[14:15], v[8:9]
	global_store_dwordx2 v[10:11], v[8:9], off
	v_add_u32_e32 v10, v7, v12
	v_cmp_lt_i32_e32 vcc, v10, v1
	s_and_saveexec_b64 s[24:25], vcc
	s_cbranch_execz .LBB19_10
; %bb.17:                               ;   in Loop: Header=BB19_12 Depth=1
	s_mov_b64 s[26:27], 0
	v_mov_b32_e32 v12, v0
	s_branch .LBB19_19
.LBB19_18:                              ;   in Loop: Header=BB19_19 Depth=2
	s_or_b64 exec, exec, s[34:35]
	v_add_u32_e32 v10, 32, v10
	v_cmp_ge_i32_e32 vcc, v10, v1
	s_or_b64 s[26:27], vcc, s[26:27]
	s_andn2_b64 exec, exec, s[26:27]
	s_cbranch_execz .LBB19_10
.LBB19_19:                              ;   Parent Loop BB19_12 Depth=1
                                        ; =>  This Loop Header: Depth=2
                                        ;       Child Loop BB19_21 Depth 3
	v_add_u32_e32 v13, v12, v18
	v_ashrrev_i32_e32 v11, 31, v10
	v_ashrrev_i32_e32 v14, 1, v13
	v_lshl_add_u64 v[22:23], v[10:11], 2, s[6:7]
	v_ashrrev_i32_e32 v15, 31, v14
	v_lshl_add_u64 v[24:25], v[14:15], 2, s[6:7]
	global_load_dword v13, v[22:23], off
	global_load_dword v15, v[24:25], off
	v_cmp_lt_i32_e32 vcc, v12, v18
	s_and_saveexec_b64 s[34:35], vcc
	s_cbranch_execz .LBB19_23
; %bb.20:                               ;   in Loop: Header=BB19_19 Depth=2
	s_mov_b64 s[36:37], 0
	v_mov_b32_e32 v19, v18
.LBB19_21:                              ;   Parent Loop BB19_12 Depth=1
                                        ;     Parent Loop BB19_19 Depth=2
                                        ; =>    This Inner Loop Header: Depth=3
	v_add_u32_e32 v22, 1, v14
	s_waitcnt vmcnt(0)
	v_cmp_lt_i32_e32 vcc, v15, v13
	s_nop 1
	v_cndmask_b32_e32 v19, v14, v19, vcc
	v_cndmask_b32_e32 v12, v12, v22, vcc
	v_add_u32_e32 v14, v19, v12
	v_ashrrev_i32_e32 v14, 1, v14
	v_ashrrev_i32_e32 v15, 31, v14
	v_lshl_add_u64 v[22:23], v[14:15], 2, s[6:7]
	global_load_dword v15, v[22:23], off
	v_cmp_ge_i32_e32 vcc, v12, v19
	s_or_b64 s[36:37], vcc, s[36:37]
	s_andn2_b64 exec, exec, s[36:37]
	s_cbranch_execnz .LBB19_21
; %bb.22:                               ;   in Loop: Header=BB19_19 Depth=2
	s_or_b64 exec, exec, s[36:37]
.LBB19_23:                              ;   in Loop: Header=BB19_19 Depth=2
	s_or_b64 exec, exec, s[34:35]
	s_waitcnt vmcnt(0)
	v_cmp_eq_u32_e32 vcc, v15, v13
	s_and_saveexec_b64 s[34:35], vcc
	s_cbranch_execz .LBB19_18
; %bb.24:                               ;   in Loop: Header=BB19_19 Depth=2
	v_lshl_add_u64 v[14:15], v[10:11], 3, s[8:9]
	v_ashrrev_i32_e32 v13, 31, v12
	v_lshl_add_u64 v[22:23], v[12:13], 3, s[8:9]
	global_load_dwordx2 v[24:25], v[14:15], off
	global_load_dwordx2 v[26:27], v[22:23], off
	s_waitcnt vmcnt(0)
	v_fma_f64 v[14:15], -v[8:9], v[24:25], v[26:27]
	global_store_dwordx2 v[22:23], v[14:15], off
	s_branch .LBB19_18
.LBB19_25:
	s_or_b64 exec, exec, s[2:3]
	v_cmp_lt_i32_e32 vcc, -1, v6
	s_and_saveexec_b64 s[6:7], vcc
	s_cbranch_execz .LBB19_41
; %bb.26:
	v_mov_b32_e32 v7, 0
	v_lshl_add_u64 v[8:9], v[6:7], 3, s[8:9]
	global_load_dwordx2 v[0:1], v[8:9], off
	v_cmp_eq_u32_e64 s[2:3], 0, v16
	s_andn2_b64 vcc, exec, s[30:31]
	s_waitcnt vmcnt(0)
	v_xor_b32_e32 v7, 0x80000000, v1
	v_cmp_gt_f64_e64 s[4:5], 0, v[0:1]
	v_mov_b32_e32 v6, v0
	s_nop 0
	v_cndmask_b32_e64 v7, v1, v7, s[4:5]
	s_mov_b64 s[4:5], -1
	s_cbranch_vccnz .LBB19_30
; %bb.27:
	s_cmp_eq_u64 s[20:21], 8
	v_cvt_f64_f32_e32 v[10:11], v17
	s_cselect_b64 vcc, -1, 0
	v_cndmask_b32_e32 v5, v11, v5, vcc
	v_cndmask_b32_e32 v4, v10, v4, vcc
	v_cmp_le_f64_e32 vcc, v[6:7], v[4:5]
	s_and_b64 s[8:9], s[2:3], vcc
	s_and_saveexec_b64 s[4:5], s[8:9]
	s_cbranch_execz .LBB19_29
; %bb.28:
	global_store_dwordx2 v[8:9], v[20:21], off
.LBB19_29:
	s_or_b64 exec, exec, s[4:5]
	s_mov_b64 s[4:5], 0
.LBB19_30:
	s_andn2_b64 vcc, exec, s[4:5]
	s_cbranch_vccnz .LBB19_41
; %bb.31:
	s_load_dwordx2 s[0:1], s[0:1], 0x48
	v_add_u32_e32 v4, s28, v2
	s_waitcnt lgkmcnt(0)
	v_cmp_ge_f64_e32 vcc, s[0:1], v[6:7]
	s_and_b64 s[4:5], s[2:3], vcc
	s_and_saveexec_b64 s[0:1], s[4:5]
	s_cbranch_execz .LBB19_36
; %bb.32:
	s_mov_b64 s[4:5], exec
	s_brev_b32 s8, -2
.LBB19_33:                              ; =>This Inner Loop Header: Depth=1
	s_ff1_i32_b64 s9, s[4:5]
	v_readlane_b32 s14, v4, s9
	s_lshl_b64 s[10:11], 1, s9
	s_min_i32 s8, s8, s14
	s_andn2_b64 s[4:5], s[4:5], s[10:11]
	s_cmp_lg_u64 s[4:5], 0
	s_cbranch_scc1 .LBB19_33
; %bb.34:
	v_mbcnt_lo_u32_b32 v5, exec_lo, 0
	v_mbcnt_hi_u32_b32 v5, exec_hi, v5
	v_cmp_eq_u32_e32 vcc, 0, v5
	s_and_saveexec_b64 s[4:5], vcc
	s_xor_b64 s[4:5], exec, s[4:5]
	s_cbranch_execz .LBB19_36
; %bb.35:
	v_mov_b32_e32 v5, 0
	v_mov_b32_e32 v6, s8
	global_atomic_smin v5, v6, s[18:19]
.LBB19_36:
	s_or_b64 exec, exec, s[0:1]
	v_cmp_eq_f64_e32 vcc, 0, v[0:1]
	s_and_b64 s[0:1], s[2:3], vcc
	s_and_b64 exec, exec, s[0:1]
	s_cbranch_execz .LBB19_41
; %bb.37:
	s_mov_b64 s[0:1], exec
	s_brev_b32 s2, -2
.LBB19_38:                              ; =>This Inner Loop Header: Depth=1
	s_ff1_i32_b64 s3, s[0:1]
	v_readlane_b32 s8, v4, s3
	s_lshl_b64 s[4:5], 1, s3
	s_min_i32 s2, s2, s8
	s_andn2_b64 s[0:1], s[0:1], s[4:5]
	s_cmp_lg_u64 s[0:1], 0
	s_cbranch_scc1 .LBB19_38
; %bb.39:
	v_mbcnt_lo_u32_b32 v0, exec_lo, 0
	v_mbcnt_hi_u32_b32 v0, exec_hi, v0
	v_cmp_eq_u32_e32 vcc, 0, v0
	s_and_saveexec_b64 s[0:1], vcc
	s_xor_b64 s[0:1], exec, s[0:1]
	s_cbranch_execz .LBB19_41
; %bb.40:
	v_mov_b32_e32 v0, 0
	v_mov_b32_e32 v1, s2
	global_atomic_smin v0, v1, s[16:17]
.LBB19_41:
	s_or_b64 exec, exec, s[6:7]
	v_cmp_eq_u32_e32 vcc, 0, v16
	buffer_wbl2 sc1
	s_waitcnt vmcnt(0)
	buffer_inv sc1
	s_and_b64 exec, exec, vcc
	s_cbranch_execz .LBB19_43
; %bb.42:
	v_lshl_add_u64 v[0:1], v[2:3], 2, s[12:13]
	v_mov_b32_e32 v2, 1
	buffer_wbl2 sc1
	global_store_dword v[0:1], v2, off sc1
.LBB19_43:
	s_endpgm
	.section	.rodata,"a",@progbits
	.p2align	6, 0x0
	.amdhsa_kernel _ZN9rocsparseL17csrilu0_binsearchILj256ELj32ELb0EdEEviPKiS2_PT2_S2_PiS2_S5_S5_d21rocsparse_index_base_imNS_24const_host_device_scalarIfEENS7_IdEENS7_IS3_EEb
		.amdhsa_group_segment_fixed_size 0
		.amdhsa_private_segment_fixed_size 0
		.amdhsa_kernarg_size 124
		.amdhsa_user_sgpr_count 2
		.amdhsa_user_sgpr_dispatch_ptr 0
		.amdhsa_user_sgpr_queue_ptr 0
		.amdhsa_user_sgpr_kernarg_segment_ptr 1
		.amdhsa_user_sgpr_dispatch_id 0
		.amdhsa_user_sgpr_kernarg_preload_length 0
		.amdhsa_user_sgpr_kernarg_preload_offset 0
		.amdhsa_user_sgpr_private_segment_size 0
		.amdhsa_uses_dynamic_stack 0
		.amdhsa_enable_private_segment 0
		.amdhsa_system_sgpr_workgroup_id_x 1
		.amdhsa_system_sgpr_workgroup_id_y 0
		.amdhsa_system_sgpr_workgroup_id_z 0
		.amdhsa_system_sgpr_workgroup_info 0
		.amdhsa_system_vgpr_workitem_id 0
		.amdhsa_next_free_vgpr 30
		.amdhsa_next_free_sgpr 38
		.amdhsa_accum_offset 32
		.amdhsa_reserve_vcc 1
		.amdhsa_float_round_mode_32 0
		.amdhsa_float_round_mode_16_64 0
		.amdhsa_float_denorm_mode_32 3
		.amdhsa_float_denorm_mode_16_64 3
		.amdhsa_dx10_clamp 1
		.amdhsa_ieee_mode 1
		.amdhsa_fp16_overflow 0
		.amdhsa_tg_split 0
		.amdhsa_exception_fp_ieee_invalid_op 0
		.amdhsa_exception_fp_denorm_src 0
		.amdhsa_exception_fp_ieee_div_zero 0
		.amdhsa_exception_fp_ieee_overflow 0
		.amdhsa_exception_fp_ieee_underflow 0
		.amdhsa_exception_fp_ieee_inexact 0
		.amdhsa_exception_int_div_zero 0
	.end_amdhsa_kernel
	.section	.text._ZN9rocsparseL17csrilu0_binsearchILj256ELj32ELb0EdEEviPKiS2_PT2_S2_PiS2_S5_S5_d21rocsparse_index_base_imNS_24const_host_device_scalarIfEENS7_IdEENS7_IS3_EEb,"axG",@progbits,_ZN9rocsparseL17csrilu0_binsearchILj256ELj32ELb0EdEEviPKiS2_PT2_S2_PiS2_S5_S5_d21rocsparse_index_base_imNS_24const_host_device_scalarIfEENS7_IdEENS7_IS3_EEb,comdat
.Lfunc_end19:
	.size	_ZN9rocsparseL17csrilu0_binsearchILj256ELj32ELb0EdEEviPKiS2_PT2_S2_PiS2_S5_S5_d21rocsparse_index_base_imNS_24const_host_device_scalarIfEENS7_IdEENS7_IS3_EEb, .Lfunc_end19-_ZN9rocsparseL17csrilu0_binsearchILj256ELj32ELb0EdEEviPKiS2_PT2_S2_PiS2_S5_S5_d21rocsparse_index_base_imNS_24const_host_device_scalarIfEENS7_IdEENS7_IS3_EEb
                                        ; -- End function
	.set _ZN9rocsparseL17csrilu0_binsearchILj256ELj32ELb0EdEEviPKiS2_PT2_S2_PiS2_S5_S5_d21rocsparse_index_base_imNS_24const_host_device_scalarIfEENS7_IdEENS7_IS3_EEb.num_vgpr, 30
	.set _ZN9rocsparseL17csrilu0_binsearchILj256ELj32ELb0EdEEviPKiS2_PT2_S2_PiS2_S5_S5_d21rocsparse_index_base_imNS_24const_host_device_scalarIfEENS7_IdEENS7_IS3_EEb.num_agpr, 0
	.set _ZN9rocsparseL17csrilu0_binsearchILj256ELj32ELb0EdEEviPKiS2_PT2_S2_PiS2_S5_S5_d21rocsparse_index_base_imNS_24const_host_device_scalarIfEENS7_IdEENS7_IS3_EEb.numbered_sgpr, 38
	.set _ZN9rocsparseL17csrilu0_binsearchILj256ELj32ELb0EdEEviPKiS2_PT2_S2_PiS2_S5_S5_d21rocsparse_index_base_imNS_24const_host_device_scalarIfEENS7_IdEENS7_IS3_EEb.num_named_barrier, 0
	.set _ZN9rocsparseL17csrilu0_binsearchILj256ELj32ELb0EdEEviPKiS2_PT2_S2_PiS2_S5_S5_d21rocsparse_index_base_imNS_24const_host_device_scalarIfEENS7_IdEENS7_IS3_EEb.private_seg_size, 0
	.set _ZN9rocsparseL17csrilu0_binsearchILj256ELj32ELb0EdEEviPKiS2_PT2_S2_PiS2_S5_S5_d21rocsparse_index_base_imNS_24const_host_device_scalarIfEENS7_IdEENS7_IS3_EEb.uses_vcc, 1
	.set _ZN9rocsparseL17csrilu0_binsearchILj256ELj32ELb0EdEEviPKiS2_PT2_S2_PiS2_S5_S5_d21rocsparse_index_base_imNS_24const_host_device_scalarIfEENS7_IdEENS7_IS3_EEb.uses_flat_scratch, 0
	.set _ZN9rocsparseL17csrilu0_binsearchILj256ELj32ELb0EdEEviPKiS2_PT2_S2_PiS2_S5_S5_d21rocsparse_index_base_imNS_24const_host_device_scalarIfEENS7_IdEENS7_IS3_EEb.has_dyn_sized_stack, 0
	.set _ZN9rocsparseL17csrilu0_binsearchILj256ELj32ELb0EdEEviPKiS2_PT2_S2_PiS2_S5_S5_d21rocsparse_index_base_imNS_24const_host_device_scalarIfEENS7_IdEENS7_IS3_EEb.has_recursion, 0
	.set _ZN9rocsparseL17csrilu0_binsearchILj256ELj32ELb0EdEEviPKiS2_PT2_S2_PiS2_S5_S5_d21rocsparse_index_base_imNS_24const_host_device_scalarIfEENS7_IdEENS7_IS3_EEb.has_indirect_call, 0
	.section	.AMDGPU.csdata,"",@progbits
; Kernel info:
; codeLenInByte = 1432
; TotalNumSgprs: 44
; NumVgprs: 30
; NumAgprs: 0
; TotalNumVgprs: 30
; ScratchSize: 0
; MemoryBound: 0
; FloatMode: 240
; IeeeMode: 1
; LDSByteSize: 0 bytes/workgroup (compile time only)
; SGPRBlocks: 5
; VGPRBlocks: 3
; NumSGPRsForWavesPerEU: 44
; NumVGPRsForWavesPerEU: 30
; AccumOffset: 32
; Occupancy: 8
; WaveLimiterHint : 1
; COMPUTE_PGM_RSRC2:SCRATCH_EN: 0
; COMPUTE_PGM_RSRC2:USER_SGPR: 2
; COMPUTE_PGM_RSRC2:TRAP_HANDLER: 0
; COMPUTE_PGM_RSRC2:TGID_X_EN: 1
; COMPUTE_PGM_RSRC2:TGID_Y_EN: 0
; COMPUTE_PGM_RSRC2:TGID_Z_EN: 0
; COMPUTE_PGM_RSRC2:TIDIG_COMP_CNT: 0
; COMPUTE_PGM_RSRC3_GFX90A:ACCUM_OFFSET: 7
; COMPUTE_PGM_RSRC3_GFX90A:TG_SPLIT: 0
	.section	.text._ZN9rocsparseL12csrilu0_hashILj256ELj64ELj1EdEEviPKiS2_PT2_S2_PiS2_S5_S5_d21rocsparse_index_base_imNS_24const_host_device_scalarIfEENS7_IdEENS7_IS3_EEb,"axG",@progbits,_ZN9rocsparseL12csrilu0_hashILj256ELj64ELj1EdEEviPKiS2_PT2_S2_PiS2_S5_S5_d21rocsparse_index_base_imNS_24const_host_device_scalarIfEENS7_IdEENS7_IS3_EEb,comdat
	.globl	_ZN9rocsparseL12csrilu0_hashILj256ELj64ELj1EdEEviPKiS2_PT2_S2_PiS2_S5_S5_d21rocsparse_index_base_imNS_24const_host_device_scalarIfEENS7_IdEENS7_IS3_EEb ; -- Begin function _ZN9rocsparseL12csrilu0_hashILj256ELj64ELj1EdEEviPKiS2_PT2_S2_PiS2_S5_S5_d21rocsparse_index_base_imNS_24const_host_device_scalarIfEENS7_IdEENS7_IS3_EEb
	.p2align	8
	.type	_ZN9rocsparseL12csrilu0_hashILj256ELj64ELj1EdEEviPKiS2_PT2_S2_PiS2_S5_S5_d21rocsparse_index_base_imNS_24const_host_device_scalarIfEENS7_IdEENS7_IS3_EEb,@function
_ZN9rocsparseL12csrilu0_hashILj256ELj64ELj1EdEEviPKiS2_PT2_S2_PiS2_S5_S5_d21rocsparse_index_base_imNS_24const_host_device_scalarIfEENS7_IdEENS7_IS3_EEb: ; @_ZN9rocsparseL12csrilu0_hashILj256ELj64ELj1EdEEviPKiS2_PT2_S2_PiS2_S5_S5_d21rocsparse_index_base_imNS_24const_host_device_scalarIfEENS7_IdEENS7_IS3_EEb
; %bb.0:
	s_load_dword s3, s[0:1], 0x78
	s_load_dwordx2 s[28:29], s[0:1], 0x50
	s_load_dwordx8 s[20:27], s[0:1], 0x58
	s_waitcnt lgkmcnt(0)
	s_bitcmp1_b32 s3, 0
	s_cselect_b64 s[4:5], -1, 0
	s_cmp_eq_u32 s29, 0
	s_cselect_b64 s[6:7], -1, 0
	s_cmp_lg_u32 s29, 0
	s_cselect_b64 s[30:31], -1, 0
	s_or_b64 s[4:5], s[6:7], s[4:5]
	s_xor_b64 s[8:9], s[4:5], -1
	s_and_b64 s[10:11], s[6:7], exec
	s_cselect_b32 s11, 0, s25
	s_cselect_b32 s10, 0, s24
	s_and_b64 vcc, exec, s[4:5]
	s_cbranch_vccnz .LBB20_2
; %bb.1:
	s_load_dword s3, s[22:23], 0x0
	s_mov_b64 s[10:11], s[24:25]
	s_waitcnt lgkmcnt(0)
	v_mov_b32_e32 v17, s3
	s_branch .LBB20_3
.LBB20_2:
	v_mov_b32_e32 v1, s22
	v_cndmask_b32_e64 v17, v1, 0, s[6:7]
.LBB20_3:
	v_cndmask_b32_e64 v1, 0, 1, s[8:9]
	v_cmp_ne_u32_e64 s[4:5], 1, v1
	s_andn2_b64 vcc, exec, s[8:9]
	v_mov_b64_e32 v[2:3], s[10:11]
	s_cbranch_vccnz .LBB20_5
; %bb.4:
	v_mov_b64_e32 v[2:3], s[24:25]
	flat_load_dwordx2 v[2:3], v[2:3]
.LBB20_5:
	s_and_b64 s[6:7], s[6:7], exec
	s_cselect_b32 s7, 0, s27
	s_cselect_b32 s6, 0, s26
	s_and_b64 vcc, exec, s[4:5]
	v_mov_b64_e32 v[22:23], s[6:7]
	s_cbranch_vccnz .LBB20_7
; %bb.6:
	v_mov_b64_e32 v[4:5], s[26:27]
	flat_load_dwordx2 v[22:23], v[4:5]
.LBB20_7:
	s_load_dword s3, s[0:1], 0x0
	s_lshl_b32 s2, s2, 2
	v_and_b32_e32 v16, 63, v0
	v_and_b32_e32 v6, 0xc0, v0
	v_mov_b32_e32 v1, 0x400
	v_lshrrev_b32_e32 v0, 6, v0
	s_and_b32 s2, s2, 0x3fffffc
	v_lshl_or_b32 v5, v6, 2, v1
	v_or_b32_e32 v0, s2, v0
	v_lshl_or_b32 v1, v16, 2, v5
	v_mov_b32_e32 v4, -1
	s_waitcnt lgkmcnt(0)
	v_cmp_gt_i32_e32 vcc, s3, v0
	ds_write_b32 v1, v4
	s_waitcnt lgkmcnt(0)
	s_and_saveexec_b64 s[2:3], vcc
	s_cbranch_execz .LBB20_79
; %bb.8:
	s_load_dwordx16 s[4:19], s[0:1], 0x8
	v_lshlrev_b32_e32 v0, 2, v0
	v_lshlrev_b32_e32 v18, 2, v6
	s_waitcnt lgkmcnt(0)
	global_load_dword v0, v0, s[14:15]
	s_waitcnt vmcnt(0)
	v_ashrrev_i32_e32 v1, 31, v0
	v_lshlrev_b64 v[8:9], 2, v[0:1]
	v_lshl_add_u64 v[10:11], s[4:5], 0, v[8:9]
	global_load_dwordx2 v[10:11], v[10:11], off
	v_lshl_add_u64 v[8:9], s[10:11], 0, v[8:9]
	global_load_dword v4, v[8:9], off
	s_waitcnt vmcnt(1)
	v_subrev_u32_e32 v6, s28, v10
	v_subrev_u32_e32 v7, s28, v11
	v_add_u32_e32 v8, v6, v16
	v_cmp_lt_i32_e32 vcc, v8, v7
	s_and_saveexec_b64 s[2:3], vcc
	s_cbranch_execz .LBB20_31
; %bb.9:
	s_mov_b64 s[14:15], 0
	v_mov_b32_e32 v10, -1
	s_branch .LBB20_11
.LBB20_10:                              ;   in Loop: Header=BB20_11 Depth=1
	s_or_b64 exec, exec, s[22:23]
	v_add_u32_e32 v8, 64, v8
	v_cmp_ge_i32_e32 vcc, v8, v7
	s_or_b64 s[14:15], vcc, s[14:15]
	s_andn2_b64 exec, exec, s[14:15]
	s_cbranch_execz .LBB20_31
.LBB20_11:                              ; =>This Loop Header: Depth=1
                                        ;     Child Loop BB20_20 Depth 2
	v_ashrrev_i32_e32 v9, 31, v8
	v_lshl_add_u64 v[12:13], v[8:9], 2, s[6:7]
	global_load_dword v9, v[12:13], off
	v_mov_b32_e32 v11, 64
	s_mov_b64 s[24:25], 0
                                        ; implicit-def: $sgpr22_sgpr23
                                        ; implicit-def: $sgpr26_sgpr27
                                        ; implicit-def: $sgpr34_sgpr35
	s_waitcnt vmcnt(0)
	v_mul_lo_u32 v13, v9, 39
	s_branch .LBB20_20
.LBB20_12:                              ;   in Loop: Header=BB20_20 Depth=2
	s_or_b64 exec, exec, s[54:55]
	s_orn2_b64 s[50:51], s[50:51], exec
	s_orn2_b64 s[52:53], s[52:53], exec
.LBB20_13:                              ;   in Loop: Header=BB20_20 Depth=2
	s_or_b64 exec, exec, s[48:49]
	s_and_b64 s[50:51], s[50:51], exec
	s_orn2_b64 s[48:49], s[52:53], exec
.LBB20_14:                              ;   in Loop: Header=BB20_20 Depth=2
	s_or_b64 exec, exec, s[46:47]
	s_orn2_b64 s[50:51], s[50:51], exec
	s_orn2_b64 s[46:47], s[48:49], exec
.LBB20_15:                              ;   in Loop: Header=BB20_20 Depth=2
	s_or_b64 exec, exec, s[44:45]
	s_and_b64 s[48:49], s[50:51], exec
	s_orn2_b64 s[44:45], s[46:47], exec
.LBB20_16:                              ;   in Loop: Header=BB20_20 Depth=2
	s_or_b64 exec, exec, s[42:43]
	s_orn2_b64 s[42:43], s[48:49], exec
	s_orn2_b64 s[44:45], s[44:45], exec
.LBB20_17:                              ;   in Loop: Header=BB20_20 Depth=2
	s_or_b64 exec, exec, s[40:41]
	s_and_b64 s[42:43], s[42:43], exec
	s_orn2_b64 s[40:41], s[44:45], exec
.LBB20_18:                              ;   in Loop: Header=BB20_20 Depth=2
	s_or_b64 exec, exec, s[38:39]
	s_andn2_b64 s[34:35], s[34:35], exec
	s_and_b64 s[38:39], s[42:43], exec
	s_or_b64 s[34:35], s[34:35], s[38:39]
	s_andn2_b64 s[26:27], s[26:27], exec
	s_and_b64 s[38:39], s[40:41], exec
	s_or_b64 s[26:27], s[26:27], s[38:39]
.LBB20_19:                              ;   in Loop: Header=BB20_20 Depth=2
	s_or_b64 exec, exec, s[36:37]
	s_and_b64 s[36:37], exec, s[26:27]
	s_or_b64 s[24:25], s[36:37], s[24:25]
	s_andn2_b64 s[22:23], s[22:23], exec
	s_and_b64 s[36:37], s[34:35], exec
	s_or_b64 s[22:23], s[22:23], s[36:37]
	s_andn2_b64 exec, exec, s[24:25]
	s_cbranch_execz .LBB20_29
.LBB20_20:                              ;   Parent Loop BB20_11 Depth=1
                                        ; =>  This Inner Loop Header: Depth=2
	v_and_b32_e32 v12, 63, v13
	v_lshl_add_u32 v14, v12, 2, v5
	ds_read_b32 v15, v14
	s_or_b64 s[34:35], s[34:35], exec
	s_or_b64 s[26:27], s[26:27], exec
	s_waitcnt lgkmcnt(0)
	v_cmp_ne_u32_e32 vcc, v15, v9
	s_and_saveexec_b64 s[36:37], vcc
	s_cbranch_execz .LBB20_19
; %bb.21:                               ;   in Loop: Header=BB20_20 Depth=2
	ds_cmpst_rtn_b32 v14, v14, v10, v9
	s_mov_b64 s[40:41], -1
	s_mov_b64 s[42:43], 0
	s_waitcnt lgkmcnt(0)
	v_cmp_ne_u32_e32 vcc, -1, v14
	s_and_saveexec_b64 s[38:39], vcc
	s_cbranch_execz .LBB20_18
; %bb.22:                               ;   in Loop: Header=BB20_20 Depth=2
	v_add_u32_e32 v12, 1, v13
	v_and_b32_e32 v12, 63, v12
	v_lshl_add_u32 v14, v12, 2, v5
	ds_read_b32 v15, v14
	s_mov_b64 s[44:45], -1
	s_mov_b64 s[42:43], -1
	s_waitcnt lgkmcnt(0)
	v_cmp_ne_u32_e32 vcc, v15, v9
	s_and_saveexec_b64 s[40:41], vcc
	s_cbranch_execz .LBB20_17
; %bb.23:                               ;   in Loop: Header=BB20_20 Depth=2
	ds_cmpst_rtn_b32 v14, v14, v10, v9
	s_mov_b64 s[48:49], 0
	s_waitcnt lgkmcnt(0)
	v_cmp_ne_u32_e32 vcc, -1, v14
	s_and_saveexec_b64 s[42:43], vcc
	s_cbranch_execz .LBB20_16
; %bb.24:                               ;   in Loop: Header=BB20_20 Depth=2
	v_add_u32_e32 v12, 2, v13
	v_and_b32_e32 v12, 63, v12
	v_lshl_add_u32 v14, v12, 2, v5
	ds_read_b32 v15, v14
	s_mov_b64 s[46:47], -1
	s_mov_b64 s[50:51], -1
	s_waitcnt lgkmcnt(0)
	v_cmp_ne_u32_e32 vcc, v15, v9
	s_and_saveexec_b64 s[44:45], vcc
	s_cbranch_execz .LBB20_15
; %bb.25:                               ;   in Loop: Header=BB20_20 Depth=2
	ds_cmpst_rtn_b32 v14, v14, v10, v9
	s_mov_b64 s[48:49], -1
	s_mov_b64 s[50:51], 0
	s_waitcnt lgkmcnt(0)
	v_cmp_ne_u32_e32 vcc, -1, v14
	s_and_saveexec_b64 s[46:47], vcc
	s_cbranch_execz .LBB20_14
; %bb.26:                               ;   in Loop: Header=BB20_20 Depth=2
	v_add_u32_e32 v12, 3, v13
	v_and_b32_e32 v12, 63, v12
	v_lshl_add_u32 v14, v12, 2, v5
	ds_read_b32 v13, v14
	s_mov_b64 s[52:53], -1
	s_mov_b64 s[50:51], -1
	s_waitcnt lgkmcnt(0)
	v_cmp_ne_u32_e32 vcc, v13, v9
                                        ; implicit-def: $vgpr13
	s_and_saveexec_b64 s[48:49], vcc
	s_cbranch_execz .LBB20_13
; %bb.27:                               ;   in Loop: Header=BB20_20 Depth=2
	ds_cmpst_rtn_b32 v13, v14, v10, v9
	s_mov_b64 s[50:51], 0
	s_waitcnt lgkmcnt(0)
	v_cmp_ne_u32_e32 vcc, -1, v13
                                        ; implicit-def: $vgpr13
	s_and_saveexec_b64 s[54:55], vcc
	s_cbranch_execz .LBB20_12
; %bb.28:                               ;   in Loop: Header=BB20_20 Depth=2
	v_add_u32_e32 v11, -4, v11
	v_cmp_eq_u32_e32 vcc, 0, v11
	s_mov_b64 s[50:51], exec
	v_add_u32_e32 v13, 1, v12
	s_orn2_b64 s[52:53], vcc, exec
	s_branch .LBB20_12
.LBB20_29:                              ;   in Loop: Header=BB20_11 Depth=1
	s_or_b64 exec, exec, s[24:25]
	s_xor_b64 s[22:23], s[22:23], -1
	s_and_saveexec_b64 s[24:25], s[22:23]
	s_xor_b64 s[22:23], exec, s[24:25]
	s_cbranch_execz .LBB20_10
; %bb.30:                               ;   in Loop: Header=BB20_11 Depth=1
	v_lshl_add_u32 v9, v12, 2, v18
	ds_write_b32 v9, v8
	s_branch .LBB20_10
.LBB20_31:
	s_or_b64 exec, exec, s[2:3]
	s_waitcnt vmcnt(0)
	v_cmp_lt_i32_e32 vcc, v6, v4
	s_waitcnt lgkmcnt(0)
	s_and_saveexec_b64 s[2:3], vcc
	s_cbranch_execz .LBB20_61
; %bb.32:
	v_add_u32_e32 v19, 1, v16
	s_mov_b64 s[14:15], 0
	s_branch .LBB20_35
.LBB20_33:                              ;   in Loop: Header=BB20_35 Depth=1
	s_or_b64 exec, exec, s[24:25]
	v_add_u32_e32 v6, 1, v6
	v_cmp_ge_i32_e32 vcc, v6, v4
	s_orn2_b64 s[24:25], vcc, exec
.LBB20_34:                              ;   in Loop: Header=BB20_35 Depth=1
	s_or_b64 exec, exec, s[22:23]
	s_and_b64 s[22:23], exec, s[24:25]
	s_or_b64 s[14:15], s[22:23], s[14:15]
	s_andn2_b64 exec, exec, s[14:15]
	s_cbranch_execz .LBB20_61
.LBB20_35:                              ; =>This Loop Header: Depth=1
                                        ;     Child Loop BB20_36 Depth 2
                                        ;     Child Loop BB20_41 Depth 2
                                        ;       Child Loop BB20_50 Depth 3
	v_ashrrev_i32_e32 v7, 31, v6
	v_lshl_add_u64 v[8:9], v[6:7], 2, s[6:7]
	global_load_dword v12, v[8:9], off
	v_lshl_add_u64 v[10:11], v[6:7], 3, s[8:9]
	global_load_dwordx2 v[8:9], v[10:11], off
	s_mov_b64 s[22:23], 0
	s_waitcnt vmcnt(1)
	v_subrev_u32_e32 v12, s28, v12
	v_ashrrev_i32_e32 v13, 31, v12
	v_lshlrev_b64 v[12:13], 2, v[12:13]
	v_lshl_add_u64 v[20:21], s[4:5], 0, v[12:13]
	v_lshl_add_u64 v[24:25], s[10:11], 0, v[12:13]
	global_load_dword v7, v[20:21], off offset:4
	global_load_dword v14, v[24:25], off
	v_lshl_add_u64 v[12:13], s[12:13], 0, v[12:13]
.LBB20_36:                              ;   Parent Loop BB20_35 Depth=1
                                        ; =>  This Inner Loop Header: Depth=2
	global_load_dword v15, v[12:13], off sc1
	s_waitcnt vmcnt(0)
	v_cmp_ne_u32_e32 vcc, 0, v15
	s_or_b64 s[22:23], vcc, s[22:23]
	s_andn2_b64 exec, exec, s[22:23]
	s_cbranch_execnz .LBB20_36
; %bb.37:                               ;   in Loop: Header=BB20_35 Depth=1
	s_or_b64 exec, exec, s[22:23]
	v_subrev_u32_e32 v7, s28, v7
	v_add_u32_e32 v12, -1, v7
	v_cmp_eq_u32_e32 vcc, -1, v14
	buffer_inv sc1
	s_mov_b64 s[24:25], -1
	v_cndmask_b32_e32 v12, v14, v12, vcc
	v_ashrrev_i32_e32 v13, 31, v12
	v_lshl_add_u64 v[14:15], v[12:13], 3, s[8:9]
	global_load_dwordx2 v[14:15], v[14:15], off
	s_waitcnt vmcnt(0)
	v_cmp_neq_f64_e32 vcc, 0, v[14:15]
	s_and_saveexec_b64 s[22:23], vcc
	s_cbranch_execz .LBB20_34
; %bb.38:                               ;   in Loop: Header=BB20_35 Depth=1
	v_div_scale_f64 v[20:21], s[24:25], v[14:15], v[14:15], v[8:9]
	v_rcp_f64_e32 v[24:25], v[20:21]
	v_div_scale_f64 v[26:27], vcc, v[8:9], v[14:15], v[8:9]
	v_fma_f64 v[28:29], -v[20:21], v[24:25], 1.0
	v_fmac_f64_e32 v[24:25], v[24:25], v[28:29]
	v_fma_f64 v[28:29], -v[20:21], v[24:25], 1.0
	v_fmac_f64_e32 v[24:25], v[24:25], v[28:29]
	v_mul_f64 v[28:29], v[26:27], v[24:25]
	v_fma_f64 v[20:21], -v[20:21], v[28:29], v[26:27]
	v_div_fmas_f64 v[20:21], v[20:21], v[24:25], v[28:29]
	v_div_fixup_f64 v[8:9], v[20:21], v[14:15], v[8:9]
	global_store_dwordx2 v[10:11], v[8:9], off
	v_add_u32_e32 v10, v19, v12
	v_cmp_lt_i32_e32 vcc, v10, v7
	s_and_saveexec_b64 s[24:25], vcc
	s_cbranch_execz .LBB20_33
; %bb.39:                               ;   in Loop: Header=BB20_35 Depth=1
	s_mov_b64 s[26:27], 0
	s_branch .LBB20_41
.LBB20_40:                              ;   in Loop: Header=BB20_41 Depth=2
	s_or_b64 exec, exec, s[34:35]
	v_add_u32_e32 v10, 64, v10
	v_cmp_ge_i32_e32 vcc, v10, v7
	s_or_b64 s[26:27], vcc, s[26:27]
	s_andn2_b64 exec, exec, s[26:27]
	s_cbranch_execz .LBB20_33
.LBB20_41:                              ;   Parent Loop BB20_35 Depth=1
                                        ; =>  This Loop Header: Depth=2
                                        ;       Child Loop BB20_50 Depth 3
	v_ashrrev_i32_e32 v11, 31, v10
	v_lshl_add_u64 v[12:13], v[10:11], 2, s[6:7]
	global_load_dword v12, v[12:13], off
	v_mov_b32_e32 v13, 64
	s_mov_b64 s[36:37], 0
                                        ; implicit-def: $sgpr34_sgpr35
                                        ; implicit-def: $sgpr38_sgpr39
                                        ; implicit-def: $sgpr40_sgpr41
	s_waitcnt vmcnt(0)
	v_mul_lo_u32 v15, v12, 39
	s_branch .LBB20_50
.LBB20_42:                              ;   in Loop: Header=BB20_50 Depth=3
	s_or_b64 exec, exec, s[60:61]
	s_orn2_b64 s[56:57], s[56:57], exec
	s_orn2_b64 s[58:59], s[58:59], exec
.LBB20_43:                              ;   in Loop: Header=BB20_50 Depth=3
	s_or_b64 exec, exec, s[54:55]
	s_and_b64 s[56:57], s[56:57], exec
	s_orn2_b64 s[54:55], s[58:59], exec
.LBB20_44:                              ;   in Loop: Header=BB20_50 Depth=3
	s_or_b64 exec, exec, s[52:53]
	s_orn2_b64 s[56:57], s[56:57], exec
	s_orn2_b64 s[52:53], s[54:55], exec
.LBB20_45:                              ;   in Loop: Header=BB20_50 Depth=3
	s_or_b64 exec, exec, s[50:51]
	s_and_b64 s[54:55], s[56:57], exec
	s_orn2_b64 s[50:51], s[52:53], exec
.LBB20_46:                              ;   in Loop: Header=BB20_50 Depth=3
	s_or_b64 exec, exec, s[48:49]
	s_orn2_b64 s[48:49], s[54:55], exec
	s_orn2_b64 s[50:51], s[50:51], exec
.LBB20_47:                              ;   in Loop: Header=BB20_50 Depth=3
	s_or_b64 exec, exec, s[46:47]
	s_and_b64 s[48:49], s[48:49], exec
	s_orn2_b64 s[46:47], s[50:51], exec
.LBB20_48:                              ;   in Loop: Header=BB20_50 Depth=3
	s_or_b64 exec, exec, s[44:45]
	s_andn2_b64 s[40:41], s[40:41], exec
	s_and_b64 s[44:45], s[48:49], exec
	s_or_b64 s[40:41], s[40:41], s[44:45]
	s_andn2_b64 s[38:39], s[38:39], exec
	s_and_b64 s[44:45], s[46:47], exec
	s_or_b64 s[38:39], s[38:39], s[44:45]
.LBB20_49:                              ;   in Loop: Header=BB20_50 Depth=3
	s_or_b64 exec, exec, s[42:43]
	s_and_b64 s[42:43], exec, s[38:39]
	s_or_b64 s[36:37], s[42:43], s[36:37]
	s_andn2_b64 s[34:35], s[34:35], exec
	s_and_b64 s[42:43], s[40:41], exec
	s_or_b64 s[34:35], s[34:35], s[42:43]
	s_andn2_b64 exec, exec, s[36:37]
	s_cbranch_execz .LBB20_59
.LBB20_50:                              ;   Parent Loop BB20_35 Depth=1
                                        ;     Parent Loop BB20_41 Depth=2
                                        ; =>    This Inner Loop Header: Depth=3
	v_and_b32_e32 v14, 63, v15
	v_lshl_add_u32 v20, v14, 2, v5
	ds_read_b32 v20, v20
	s_or_b64 s[40:41], s[40:41], exec
	s_or_b64 s[38:39], s[38:39], exec
	s_waitcnt lgkmcnt(0)
	v_cmp_ne_u32_e32 vcc, -1, v20
	s_and_saveexec_b64 s[42:43], vcc
	s_cbranch_execz .LBB20_49
; %bb.51:                               ;   in Loop: Header=BB20_50 Depth=3
	v_cmp_ne_u32_e32 vcc, v20, v12
	s_mov_b64 s[46:47], -1
	s_mov_b64 s[48:49], 0
	s_and_saveexec_b64 s[44:45], vcc
	s_cbranch_execz .LBB20_48
; %bb.52:                               ;   in Loop: Header=BB20_50 Depth=3
	v_add_u32_e32 v14, 1, v15
	v_and_b32_e32 v14, 63, v14
	v_lshl_add_u32 v20, v14, 2, v5
	ds_read_b32 v20, v20
	s_mov_b64 s[50:51], -1
	s_mov_b64 s[48:49], -1
	s_waitcnt lgkmcnt(0)
	v_cmp_ne_u32_e32 vcc, -1, v20
	s_and_saveexec_b64 s[46:47], vcc
	s_cbranch_execz .LBB20_47
; %bb.53:                               ;   in Loop: Header=BB20_50 Depth=3
	v_cmp_ne_u32_e32 vcc, v20, v12
	s_mov_b64 s[54:55], 0
	s_and_saveexec_b64 s[48:49], vcc
	s_cbranch_execz .LBB20_46
; %bb.54:                               ;   in Loop: Header=BB20_50 Depth=3
	v_add_u32_e32 v14, 2, v15
	v_and_b32_e32 v14, 63, v14
	v_lshl_add_u32 v20, v14, 2, v5
	ds_read_b32 v20, v20
	s_mov_b64 s[52:53], -1
	s_mov_b64 s[56:57], -1
	s_waitcnt lgkmcnt(0)
	v_cmp_ne_u32_e32 vcc, -1, v20
	s_and_saveexec_b64 s[50:51], vcc
	s_cbranch_execz .LBB20_45
; %bb.55:                               ;   in Loop: Header=BB20_50 Depth=3
	v_cmp_ne_u32_e32 vcc, v20, v12
	s_mov_b64 s[54:55], -1
	s_mov_b64 s[56:57], 0
	s_and_saveexec_b64 s[52:53], vcc
	s_cbranch_execz .LBB20_44
; %bb.56:                               ;   in Loop: Header=BB20_50 Depth=3
	v_add_u32_e32 v14, 3, v15
	v_and_b32_e32 v14, 63, v14
	v_lshl_add_u32 v15, v14, 2, v5
	ds_read_b32 v20, v15
	s_mov_b64 s[58:59], -1
	s_mov_b64 s[56:57], -1
                                        ; implicit-def: $vgpr15
	s_waitcnt lgkmcnt(0)
	v_cmp_ne_u32_e32 vcc, -1, v20
	s_and_saveexec_b64 s[54:55], vcc
	s_cbranch_execz .LBB20_43
; %bb.57:                               ;   in Loop: Header=BB20_50 Depth=3
	v_cmp_ne_u32_e32 vcc, v20, v12
	s_mov_b64 s[56:57], 0
                                        ; implicit-def: $vgpr15
	s_and_saveexec_b64 s[60:61], vcc
	s_cbranch_execz .LBB20_42
; %bb.58:                               ;   in Loop: Header=BB20_50 Depth=3
	v_add_u32_e32 v13, -4, v13
	v_cmp_eq_u32_e32 vcc, 0, v13
	s_mov_b64 s[56:57], exec
	v_add_u32_e32 v15, 1, v14
	s_orn2_b64 s[58:59], vcc, exec
	s_branch .LBB20_42
.LBB20_59:                              ;   in Loop: Header=BB20_41 Depth=2
	s_or_b64 exec, exec, s[36:37]
	s_xor_b64 s[34:35], s[34:35], -1
	s_and_saveexec_b64 s[36:37], s[34:35]
	s_xor_b64 s[34:35], exec, s[36:37]
	s_cbranch_execz .LBB20_40
; %bb.60:                               ;   in Loop: Header=BB20_41 Depth=2
	v_lshl_add_u32 v12, v14, 2, v18
	ds_read_b32 v12, v12
	v_lshl_add_u64 v[14:15], v[10:11], 3, s[8:9]
	s_waitcnt lgkmcnt(0)
	v_ashrrev_i32_e32 v13, 31, v12
	v_lshl_add_u64 v[12:13], v[12:13], 3, s[8:9]
	global_load_dwordx2 v[20:21], v[14:15], off
	global_load_dwordx2 v[24:25], v[12:13], off
	s_waitcnt vmcnt(0)
	v_fma_f64 v[14:15], -v[8:9], v[20:21], v[24:25]
	global_store_dwordx2 v[12:13], v[14:15], off
	s_branch .LBB20_40
.LBB20_61:
	s_or_b64 exec, exec, s[2:3]
	v_cmp_lt_i32_e32 vcc, -1, v4
	s_and_saveexec_b64 s[6:7], vcc
	s_cbranch_execz .LBB20_77
; %bb.62:
	v_mov_b32_e32 v5, 0
	v_lshl_add_u64 v[8:9], v[4:5], 3, s[8:9]
	global_load_dwordx2 v[4:5], v[8:9], off
	v_cmp_eq_u32_e64 s[2:3], 0, v16
	s_andn2_b64 vcc, exec, s[30:31]
	s_waitcnt vmcnt(0)
	v_xor_b32_e32 v7, 0x80000000, v5
	v_cmp_gt_f64_e64 s[4:5], 0, v[4:5]
	v_mov_b32_e32 v6, v4
	s_nop 0
	v_cndmask_b32_e64 v7, v5, v7, s[4:5]
	s_mov_b64 s[4:5], -1
	s_cbranch_vccnz .LBB20_66
; %bb.63:
	s_cmp_eq_u64 s[20:21], 8
	v_cvt_f64_f32_e32 v[10:11], v17
	s_cselect_b64 vcc, -1, 0
	v_cndmask_b32_e32 v3, v11, v3, vcc
	v_cndmask_b32_e32 v2, v10, v2, vcc
	v_cmp_le_f64_e32 vcc, v[6:7], v[2:3]
	s_and_b64 s[8:9], s[2:3], vcc
	s_and_saveexec_b64 s[4:5], s[8:9]
	s_cbranch_execz .LBB20_65
; %bb.64:
	global_store_dwordx2 v[8:9], v[22:23], off
	buffer_wbl2 sc1
	s_waitcnt vmcnt(0)
	buffer_inv sc1
.LBB20_65:
	s_or_b64 exec, exec, s[4:5]
	s_mov_b64 s[4:5], 0
.LBB20_66:
	s_andn2_b64 vcc, exec, s[4:5]
	s_cbranch_vccnz .LBB20_77
; %bb.67:
	s_load_dwordx2 s[0:1], s[0:1], 0x48
	v_add_u32_e32 v2, s28, v0
	s_waitcnt lgkmcnt(0)
	v_cmp_ge_f64_e32 vcc, s[0:1], v[6:7]
	s_and_b64 s[4:5], s[2:3], vcc
	s_and_saveexec_b64 s[0:1], s[4:5]
	s_cbranch_execz .LBB20_72
; %bb.68:
	s_mov_b64 s[4:5], exec
	s_brev_b32 s8, -2
.LBB20_69:                              ; =>This Inner Loop Header: Depth=1
	s_ff1_i32_b64 s9, s[4:5]
	v_readlane_b32 s14, v2, s9
	s_lshl_b64 s[10:11], 1, s9
	s_min_i32 s8, s8, s14
	s_andn2_b64 s[4:5], s[4:5], s[10:11]
	s_cmp_lg_u64 s[4:5], 0
	s_cbranch_scc1 .LBB20_69
; %bb.70:
	v_mbcnt_lo_u32_b32 v3, exec_lo, 0
	v_mbcnt_hi_u32_b32 v3, exec_hi, v3
	v_cmp_eq_u32_e32 vcc, 0, v3
	s_and_saveexec_b64 s[4:5], vcc
	s_xor_b64 s[4:5], exec, s[4:5]
	s_cbranch_execz .LBB20_72
; %bb.71:
	v_mov_b32_e32 v3, 0
	v_mov_b32_e32 v6, s8
	global_atomic_smin v3, v6, s[18:19]
.LBB20_72:
	s_or_b64 exec, exec, s[0:1]
	v_cmp_eq_f64_e32 vcc, 0, v[4:5]
	s_and_b64 s[0:1], s[2:3], vcc
	s_and_b64 exec, exec, s[0:1]
	s_cbranch_execz .LBB20_77
; %bb.73:
	s_mov_b64 s[0:1], exec
	s_brev_b32 s2, -2
.LBB20_74:                              ; =>This Inner Loop Header: Depth=1
	s_ff1_i32_b64 s3, s[0:1]
	v_readlane_b32 s8, v2, s3
	s_lshl_b64 s[4:5], 1, s3
	s_min_i32 s2, s2, s8
	s_andn2_b64 s[0:1], s[0:1], s[4:5]
	s_cmp_lg_u64 s[0:1], 0
	s_cbranch_scc1 .LBB20_74
; %bb.75:
	v_mbcnt_lo_u32_b32 v2, exec_lo, 0
	v_mbcnt_hi_u32_b32 v2, exec_hi, v2
	v_cmp_eq_u32_e32 vcc, 0, v2
	s_and_saveexec_b64 s[0:1], vcc
	s_xor_b64 s[0:1], exec, s[0:1]
	s_cbranch_execz .LBB20_77
; %bb.76:
	v_mov_b32_e32 v2, 0
	v_mov_b32_e32 v3, s2
	global_atomic_smin v2, v3, s[16:17]
.LBB20_77:
	s_or_b64 exec, exec, s[6:7]
	v_cmp_eq_u32_e32 vcc, 0, v16
	buffer_wbl2 sc1
	s_waitcnt vmcnt(0)
	buffer_inv sc1
	s_and_b64 exec, exec, vcc
	s_cbranch_execz .LBB20_79
; %bb.78:
	v_lshl_add_u64 v[0:1], v[0:1], 2, s[12:13]
	v_mov_b32_e32 v2, 1
	buffer_wbl2 sc1
	global_store_dword v[0:1], v2, off sc1
.LBB20_79:
	s_endpgm
	.section	.rodata,"a",@progbits
	.p2align	6, 0x0
	.amdhsa_kernel _ZN9rocsparseL12csrilu0_hashILj256ELj64ELj1EdEEviPKiS2_PT2_S2_PiS2_S5_S5_d21rocsparse_index_base_imNS_24const_host_device_scalarIfEENS7_IdEENS7_IS3_EEb
		.amdhsa_group_segment_fixed_size 2048
		.amdhsa_private_segment_fixed_size 0
		.amdhsa_kernarg_size 124
		.amdhsa_user_sgpr_count 2
		.amdhsa_user_sgpr_dispatch_ptr 0
		.amdhsa_user_sgpr_queue_ptr 0
		.amdhsa_user_sgpr_kernarg_segment_ptr 1
		.amdhsa_user_sgpr_dispatch_id 0
		.amdhsa_user_sgpr_kernarg_preload_length 0
		.amdhsa_user_sgpr_kernarg_preload_offset 0
		.amdhsa_user_sgpr_private_segment_size 0
		.amdhsa_uses_dynamic_stack 0
		.amdhsa_enable_private_segment 0
		.amdhsa_system_sgpr_workgroup_id_x 1
		.amdhsa_system_sgpr_workgroup_id_y 0
		.amdhsa_system_sgpr_workgroup_id_z 0
		.amdhsa_system_sgpr_workgroup_info 0
		.amdhsa_system_vgpr_workitem_id 0
		.amdhsa_next_free_vgpr 30
		.amdhsa_next_free_sgpr 62
		.amdhsa_accum_offset 32
		.amdhsa_reserve_vcc 1
		.amdhsa_float_round_mode_32 0
		.amdhsa_float_round_mode_16_64 0
		.amdhsa_float_denorm_mode_32 3
		.amdhsa_float_denorm_mode_16_64 3
		.amdhsa_dx10_clamp 1
		.amdhsa_ieee_mode 1
		.amdhsa_fp16_overflow 0
		.amdhsa_tg_split 0
		.amdhsa_exception_fp_ieee_invalid_op 0
		.amdhsa_exception_fp_denorm_src 0
		.amdhsa_exception_fp_ieee_div_zero 0
		.amdhsa_exception_fp_ieee_overflow 0
		.amdhsa_exception_fp_ieee_underflow 0
		.amdhsa_exception_fp_ieee_inexact 0
		.amdhsa_exception_int_div_zero 0
	.end_amdhsa_kernel
	.section	.text._ZN9rocsparseL12csrilu0_hashILj256ELj64ELj1EdEEviPKiS2_PT2_S2_PiS2_S5_S5_d21rocsparse_index_base_imNS_24const_host_device_scalarIfEENS7_IdEENS7_IS3_EEb,"axG",@progbits,_ZN9rocsparseL12csrilu0_hashILj256ELj64ELj1EdEEviPKiS2_PT2_S2_PiS2_S5_S5_d21rocsparse_index_base_imNS_24const_host_device_scalarIfEENS7_IdEENS7_IS3_EEb,comdat
.Lfunc_end20:
	.size	_ZN9rocsparseL12csrilu0_hashILj256ELj64ELj1EdEEviPKiS2_PT2_S2_PiS2_S5_S5_d21rocsparse_index_base_imNS_24const_host_device_scalarIfEENS7_IdEENS7_IS3_EEb, .Lfunc_end20-_ZN9rocsparseL12csrilu0_hashILj256ELj64ELj1EdEEviPKiS2_PT2_S2_PiS2_S5_S5_d21rocsparse_index_base_imNS_24const_host_device_scalarIfEENS7_IdEENS7_IS3_EEb
                                        ; -- End function
	.set _ZN9rocsparseL12csrilu0_hashILj256ELj64ELj1EdEEviPKiS2_PT2_S2_PiS2_S5_S5_d21rocsparse_index_base_imNS_24const_host_device_scalarIfEENS7_IdEENS7_IS3_EEb.num_vgpr, 30
	.set _ZN9rocsparseL12csrilu0_hashILj256ELj64ELj1EdEEviPKiS2_PT2_S2_PiS2_S5_S5_d21rocsparse_index_base_imNS_24const_host_device_scalarIfEENS7_IdEENS7_IS3_EEb.num_agpr, 0
	.set _ZN9rocsparseL12csrilu0_hashILj256ELj64ELj1EdEEviPKiS2_PT2_S2_PiS2_S5_S5_d21rocsparse_index_base_imNS_24const_host_device_scalarIfEENS7_IdEENS7_IS3_EEb.numbered_sgpr, 62
	.set _ZN9rocsparseL12csrilu0_hashILj256ELj64ELj1EdEEviPKiS2_PT2_S2_PiS2_S5_S5_d21rocsparse_index_base_imNS_24const_host_device_scalarIfEENS7_IdEENS7_IS3_EEb.num_named_barrier, 0
	.set _ZN9rocsparseL12csrilu0_hashILj256ELj64ELj1EdEEviPKiS2_PT2_S2_PiS2_S5_S5_d21rocsparse_index_base_imNS_24const_host_device_scalarIfEENS7_IdEENS7_IS3_EEb.private_seg_size, 0
	.set _ZN9rocsparseL12csrilu0_hashILj256ELj64ELj1EdEEviPKiS2_PT2_S2_PiS2_S5_S5_d21rocsparse_index_base_imNS_24const_host_device_scalarIfEENS7_IdEENS7_IS3_EEb.uses_vcc, 1
	.set _ZN9rocsparseL12csrilu0_hashILj256ELj64ELj1EdEEviPKiS2_PT2_S2_PiS2_S5_S5_d21rocsparse_index_base_imNS_24const_host_device_scalarIfEENS7_IdEENS7_IS3_EEb.uses_flat_scratch, 0
	.set _ZN9rocsparseL12csrilu0_hashILj256ELj64ELj1EdEEviPKiS2_PT2_S2_PiS2_S5_S5_d21rocsparse_index_base_imNS_24const_host_device_scalarIfEENS7_IdEENS7_IS3_EEb.has_dyn_sized_stack, 0
	.set _ZN9rocsparseL12csrilu0_hashILj256ELj64ELj1EdEEviPKiS2_PT2_S2_PiS2_S5_S5_d21rocsparse_index_base_imNS_24const_host_device_scalarIfEENS7_IdEENS7_IS3_EEb.has_recursion, 0
	.set _ZN9rocsparseL12csrilu0_hashILj256ELj64ELj1EdEEviPKiS2_PT2_S2_PiS2_S5_S5_d21rocsparse_index_base_imNS_24const_host_device_scalarIfEENS7_IdEENS7_IS3_EEb.has_indirect_call, 0
	.section	.AMDGPU.csdata,"",@progbits
; Kernel info:
; codeLenInByte = 2404
; TotalNumSgprs: 68
; NumVgprs: 30
; NumAgprs: 0
; TotalNumVgprs: 30
; ScratchSize: 0
; MemoryBound: 0
; FloatMode: 240
; IeeeMode: 1
; LDSByteSize: 2048 bytes/workgroup (compile time only)
; SGPRBlocks: 8
; VGPRBlocks: 3
; NumSGPRsForWavesPerEU: 68
; NumVGPRsForWavesPerEU: 30
; AccumOffset: 32
; Occupancy: 8
; WaveLimiterHint : 1
; COMPUTE_PGM_RSRC2:SCRATCH_EN: 0
; COMPUTE_PGM_RSRC2:USER_SGPR: 2
; COMPUTE_PGM_RSRC2:TRAP_HANDLER: 0
; COMPUTE_PGM_RSRC2:TGID_X_EN: 1
; COMPUTE_PGM_RSRC2:TGID_Y_EN: 0
; COMPUTE_PGM_RSRC2:TGID_Z_EN: 0
; COMPUTE_PGM_RSRC2:TIDIG_COMP_CNT: 0
; COMPUTE_PGM_RSRC3_GFX90A:ACCUM_OFFSET: 7
; COMPUTE_PGM_RSRC3_GFX90A:TG_SPLIT: 0
	.section	.text._ZN9rocsparseL12csrilu0_hashILj256ELj64ELj2EdEEviPKiS2_PT2_S2_PiS2_S5_S5_d21rocsparse_index_base_imNS_24const_host_device_scalarIfEENS7_IdEENS7_IS3_EEb,"axG",@progbits,_ZN9rocsparseL12csrilu0_hashILj256ELj64ELj2EdEEviPKiS2_PT2_S2_PiS2_S5_S5_d21rocsparse_index_base_imNS_24const_host_device_scalarIfEENS7_IdEENS7_IS3_EEb,comdat
	.globl	_ZN9rocsparseL12csrilu0_hashILj256ELj64ELj2EdEEviPKiS2_PT2_S2_PiS2_S5_S5_d21rocsparse_index_base_imNS_24const_host_device_scalarIfEENS7_IdEENS7_IS3_EEb ; -- Begin function _ZN9rocsparseL12csrilu0_hashILj256ELj64ELj2EdEEviPKiS2_PT2_S2_PiS2_S5_S5_d21rocsparse_index_base_imNS_24const_host_device_scalarIfEENS7_IdEENS7_IS3_EEb
	.p2align	8
	.type	_ZN9rocsparseL12csrilu0_hashILj256ELj64ELj2EdEEviPKiS2_PT2_S2_PiS2_S5_S5_d21rocsparse_index_base_imNS_24const_host_device_scalarIfEENS7_IdEENS7_IS3_EEb,@function
_ZN9rocsparseL12csrilu0_hashILj256ELj64ELj2EdEEviPKiS2_PT2_S2_PiS2_S5_S5_d21rocsparse_index_base_imNS_24const_host_device_scalarIfEENS7_IdEENS7_IS3_EEb: ; @_ZN9rocsparseL12csrilu0_hashILj256ELj64ELj2EdEEviPKiS2_PT2_S2_PiS2_S5_S5_d21rocsparse_index_base_imNS_24const_host_device_scalarIfEENS7_IdEENS7_IS3_EEb
; %bb.0:
	s_load_dword s3, s[0:1], 0x78
	s_load_dwordx2 s[28:29], s[0:1], 0x50
	s_load_dwordx8 s[20:27], s[0:1], 0x58
	s_waitcnt lgkmcnt(0)
	s_bitcmp1_b32 s3, 0
	s_cselect_b64 s[4:5], -1, 0
	s_cmp_eq_u32 s29, 0
	s_cselect_b64 s[6:7], -1, 0
	s_cmp_lg_u32 s29, 0
	s_cselect_b64 s[30:31], -1, 0
	s_or_b64 s[4:5], s[6:7], s[4:5]
	s_xor_b64 s[8:9], s[4:5], -1
	s_and_b64 s[10:11], s[6:7], exec
	s_cselect_b32 s11, 0, s25
	s_cselect_b32 s10, 0, s24
	s_and_b64 vcc, exec, s[4:5]
	s_cbranch_vccnz .LBB21_2
; %bb.1:
	s_load_dword s3, s[22:23], 0x0
	s_mov_b64 s[10:11], s[24:25]
	s_waitcnt lgkmcnt(0)
	v_mov_b32_e32 v17, s3
	s_branch .LBB21_3
.LBB21_2:
	v_mov_b32_e32 v1, s22
	v_cndmask_b32_e64 v17, v1, 0, s[6:7]
.LBB21_3:
	v_cndmask_b32_e64 v1, 0, 1, s[8:9]
	v_cmp_ne_u32_e64 s[4:5], 1, v1
	s_andn2_b64 vcc, exec, s[8:9]
	v_mov_b64_e32 v[2:3], s[10:11]
	s_cbranch_vccnz .LBB21_5
; %bb.4:
	v_mov_b64_e32 v[2:3], s[24:25]
	flat_load_dwordx2 v[2:3], v[2:3]
.LBB21_5:
	s_and_b64 s[6:7], s[6:7], exec
	s_cselect_b32 s7, 0, s27
	s_cselect_b32 s6, 0, s26
	s_and_b64 vcc, exec, s[4:5]
	v_mov_b64_e32 v[22:23], s[6:7]
	s_cbranch_vccnz .LBB21_7
; %bb.6:
	v_mov_b64_e32 v[4:5], s[26:27]
	flat_load_dwordx2 v[22:23], v[4:5]
.LBB21_7:
	s_load_dword s3, s[0:1], 0x0
	v_lshlrev_b32_e32 v1, 1, v0
	s_lshl_b32 s2, s2, 2
	v_and_b32_e32 v16, 63, v0
	v_and_b32_e32 v6, 0x180, v1
	v_mov_b32_e32 v1, 0x800
	v_lshrrev_b32_e32 v0, 6, v0
	s_and_b32 s2, s2, 0x3fffffc
	v_lshl_or_b32 v5, v6, 2, v1
	v_or_b32_e32 v0, s2, v0
	v_lshl_or_b32 v1, v16, 2, v5
	v_mov_b32_e32 v4, -1
	s_waitcnt lgkmcnt(0)
	v_cmp_gt_i32_e32 vcc, s3, v0
	ds_write2st64_b32 v1, v4, v4 offset1:1
	s_waitcnt lgkmcnt(0)
	s_and_saveexec_b64 s[2:3], vcc
	s_cbranch_execz .LBB21_79
; %bb.8:
	s_load_dwordx16 s[4:19], s[0:1], 0x8
	v_lshlrev_b32_e32 v0, 2, v0
	v_lshlrev_b32_e32 v18, 2, v6
	s_waitcnt lgkmcnt(0)
	global_load_dword v0, v0, s[14:15]
	s_waitcnt vmcnt(0)
	v_ashrrev_i32_e32 v1, 31, v0
	v_lshlrev_b64 v[8:9], 2, v[0:1]
	v_lshl_add_u64 v[10:11], s[4:5], 0, v[8:9]
	global_load_dwordx2 v[10:11], v[10:11], off
	v_lshl_add_u64 v[8:9], s[10:11], 0, v[8:9]
	global_load_dword v4, v[8:9], off
	s_waitcnt vmcnt(1)
	v_subrev_u32_e32 v6, s28, v10
	v_subrev_u32_e32 v7, s28, v11
	v_add_u32_e32 v8, v6, v16
	v_cmp_lt_i32_e32 vcc, v8, v7
	s_and_saveexec_b64 s[2:3], vcc
	s_cbranch_execz .LBB21_31
; %bb.9:
	s_mov_b64 s[14:15], 0
	s_movk_i32 s29, 0x67
	v_mov_b32_e32 v10, -1
	s_branch .LBB21_11
.LBB21_10:                              ;   in Loop: Header=BB21_11 Depth=1
	s_or_b64 exec, exec, s[22:23]
	v_add_u32_e32 v8, 64, v8
	v_cmp_ge_i32_e32 vcc, v8, v7
	s_or_b64 s[14:15], vcc, s[14:15]
	s_andn2_b64 exec, exec, s[14:15]
	s_cbranch_execz .LBB21_31
.LBB21_11:                              ; =>This Loop Header: Depth=1
                                        ;     Child Loop BB21_20 Depth 2
	v_ashrrev_i32_e32 v9, 31, v8
	v_lshl_add_u64 v[12:13], v[8:9], 2, s[6:7]
	global_load_dword v9, v[12:13], off
	v_mov_b32_e32 v11, 0x80
	s_mov_b64 s[24:25], 0
                                        ; implicit-def: $sgpr22_sgpr23
                                        ; implicit-def: $sgpr26_sgpr27
                                        ; implicit-def: $sgpr34_sgpr35
	s_waitcnt vmcnt(0)
	v_mul_lo_u32 v13, v9, s29
	s_branch .LBB21_20
.LBB21_12:                              ;   in Loop: Header=BB21_20 Depth=2
	s_or_b64 exec, exec, s[54:55]
	s_orn2_b64 s[50:51], s[50:51], exec
	s_orn2_b64 s[52:53], s[52:53], exec
.LBB21_13:                              ;   in Loop: Header=BB21_20 Depth=2
	s_or_b64 exec, exec, s[48:49]
	s_and_b64 s[50:51], s[50:51], exec
	s_orn2_b64 s[48:49], s[52:53], exec
.LBB21_14:                              ;   in Loop: Header=BB21_20 Depth=2
	s_or_b64 exec, exec, s[46:47]
	s_orn2_b64 s[50:51], s[50:51], exec
	s_orn2_b64 s[46:47], s[48:49], exec
.LBB21_15:                              ;   in Loop: Header=BB21_20 Depth=2
	s_or_b64 exec, exec, s[44:45]
	s_and_b64 s[48:49], s[50:51], exec
	s_orn2_b64 s[44:45], s[46:47], exec
.LBB21_16:                              ;   in Loop: Header=BB21_20 Depth=2
	s_or_b64 exec, exec, s[42:43]
	s_orn2_b64 s[42:43], s[48:49], exec
	s_orn2_b64 s[44:45], s[44:45], exec
.LBB21_17:                              ;   in Loop: Header=BB21_20 Depth=2
	s_or_b64 exec, exec, s[40:41]
	s_and_b64 s[42:43], s[42:43], exec
	s_orn2_b64 s[40:41], s[44:45], exec
.LBB21_18:                              ;   in Loop: Header=BB21_20 Depth=2
	s_or_b64 exec, exec, s[38:39]
	s_andn2_b64 s[34:35], s[34:35], exec
	s_and_b64 s[38:39], s[42:43], exec
	s_or_b64 s[34:35], s[34:35], s[38:39]
	s_andn2_b64 s[26:27], s[26:27], exec
	s_and_b64 s[38:39], s[40:41], exec
	s_or_b64 s[26:27], s[26:27], s[38:39]
.LBB21_19:                              ;   in Loop: Header=BB21_20 Depth=2
	s_or_b64 exec, exec, s[36:37]
	s_and_b64 s[36:37], exec, s[26:27]
	s_or_b64 s[24:25], s[36:37], s[24:25]
	s_andn2_b64 s[22:23], s[22:23], exec
	s_and_b64 s[36:37], s[34:35], exec
	s_or_b64 s[22:23], s[22:23], s[36:37]
	s_andn2_b64 exec, exec, s[24:25]
	s_cbranch_execz .LBB21_29
.LBB21_20:                              ;   Parent Loop BB21_11 Depth=1
                                        ; =>  This Inner Loop Header: Depth=2
	v_and_b32_e32 v12, 0x7f, v13
	v_lshl_add_u32 v14, v12, 2, v5
	ds_read_b32 v15, v14
	s_or_b64 s[34:35], s[34:35], exec
	s_or_b64 s[26:27], s[26:27], exec
	s_waitcnt lgkmcnt(0)
	v_cmp_ne_u32_e32 vcc, v15, v9
	s_and_saveexec_b64 s[36:37], vcc
	s_cbranch_execz .LBB21_19
; %bb.21:                               ;   in Loop: Header=BB21_20 Depth=2
	ds_cmpst_rtn_b32 v14, v14, v10, v9
	s_mov_b64 s[40:41], -1
	s_mov_b64 s[42:43], 0
	s_waitcnt lgkmcnt(0)
	v_cmp_ne_u32_e32 vcc, -1, v14
	s_and_saveexec_b64 s[38:39], vcc
	s_cbranch_execz .LBB21_18
; %bb.22:                               ;   in Loop: Header=BB21_20 Depth=2
	v_add_u32_e32 v12, 1, v13
	v_and_b32_e32 v12, 0x7f, v12
	v_lshl_add_u32 v14, v12, 2, v5
	ds_read_b32 v15, v14
	s_mov_b64 s[44:45], -1
	s_mov_b64 s[42:43], -1
	s_waitcnt lgkmcnt(0)
	v_cmp_ne_u32_e32 vcc, v15, v9
	s_and_saveexec_b64 s[40:41], vcc
	s_cbranch_execz .LBB21_17
; %bb.23:                               ;   in Loop: Header=BB21_20 Depth=2
	ds_cmpst_rtn_b32 v14, v14, v10, v9
	s_mov_b64 s[48:49], 0
	s_waitcnt lgkmcnt(0)
	v_cmp_ne_u32_e32 vcc, -1, v14
	s_and_saveexec_b64 s[42:43], vcc
	s_cbranch_execz .LBB21_16
; %bb.24:                               ;   in Loop: Header=BB21_20 Depth=2
	v_add_u32_e32 v12, 2, v13
	v_and_b32_e32 v12, 0x7f, v12
	v_lshl_add_u32 v14, v12, 2, v5
	ds_read_b32 v15, v14
	s_mov_b64 s[46:47], -1
	s_mov_b64 s[50:51], -1
	s_waitcnt lgkmcnt(0)
	v_cmp_ne_u32_e32 vcc, v15, v9
	s_and_saveexec_b64 s[44:45], vcc
	s_cbranch_execz .LBB21_15
; %bb.25:                               ;   in Loop: Header=BB21_20 Depth=2
	ds_cmpst_rtn_b32 v14, v14, v10, v9
	s_mov_b64 s[48:49], -1
	s_mov_b64 s[50:51], 0
	s_waitcnt lgkmcnt(0)
	v_cmp_ne_u32_e32 vcc, -1, v14
	s_and_saveexec_b64 s[46:47], vcc
	s_cbranch_execz .LBB21_14
; %bb.26:                               ;   in Loop: Header=BB21_20 Depth=2
	v_add_u32_e32 v12, 3, v13
	v_and_b32_e32 v12, 0x7f, v12
	v_lshl_add_u32 v14, v12, 2, v5
	ds_read_b32 v13, v14
	s_mov_b64 s[52:53], -1
	s_mov_b64 s[50:51], -1
	s_waitcnt lgkmcnt(0)
	v_cmp_ne_u32_e32 vcc, v13, v9
                                        ; implicit-def: $vgpr13
	s_and_saveexec_b64 s[48:49], vcc
	s_cbranch_execz .LBB21_13
; %bb.27:                               ;   in Loop: Header=BB21_20 Depth=2
	ds_cmpst_rtn_b32 v13, v14, v10, v9
	s_mov_b64 s[50:51], 0
	s_waitcnt lgkmcnt(0)
	v_cmp_ne_u32_e32 vcc, -1, v13
                                        ; implicit-def: $vgpr13
	s_and_saveexec_b64 s[54:55], vcc
	s_cbranch_execz .LBB21_12
; %bb.28:                               ;   in Loop: Header=BB21_20 Depth=2
	v_add_u32_e32 v11, -4, v11
	v_cmp_eq_u32_e32 vcc, 0, v11
	s_mov_b64 s[50:51], exec
	v_add_u32_e32 v13, 1, v12
	s_orn2_b64 s[52:53], vcc, exec
	s_branch .LBB21_12
.LBB21_29:                              ;   in Loop: Header=BB21_11 Depth=1
	s_or_b64 exec, exec, s[24:25]
	s_xor_b64 s[22:23], s[22:23], -1
	s_and_saveexec_b64 s[24:25], s[22:23]
	s_xor_b64 s[22:23], exec, s[24:25]
	s_cbranch_execz .LBB21_10
; %bb.30:                               ;   in Loop: Header=BB21_11 Depth=1
	v_lshl_add_u32 v9, v12, 2, v18
	ds_write_b32 v9, v8
	s_branch .LBB21_10
.LBB21_31:
	s_or_b64 exec, exec, s[2:3]
	s_waitcnt vmcnt(0)
	v_cmp_lt_i32_e32 vcc, v6, v4
	s_waitcnt lgkmcnt(0)
	s_and_saveexec_b64 s[2:3], vcc
	s_cbranch_execz .LBB21_61
; %bb.32:
	v_add_u32_e32 v19, 1, v16
	s_mov_b64 s[14:15], 0
	s_movk_i32 s29, 0x67
	s_branch .LBB21_35
.LBB21_33:                              ;   in Loop: Header=BB21_35 Depth=1
	s_or_b64 exec, exec, s[24:25]
	v_add_u32_e32 v6, 1, v6
	v_cmp_ge_i32_e32 vcc, v6, v4
	s_orn2_b64 s[24:25], vcc, exec
.LBB21_34:                              ;   in Loop: Header=BB21_35 Depth=1
	s_or_b64 exec, exec, s[22:23]
	s_and_b64 s[22:23], exec, s[24:25]
	s_or_b64 s[14:15], s[22:23], s[14:15]
	s_andn2_b64 exec, exec, s[14:15]
	s_cbranch_execz .LBB21_61
.LBB21_35:                              ; =>This Loop Header: Depth=1
                                        ;     Child Loop BB21_36 Depth 2
                                        ;     Child Loop BB21_41 Depth 2
                                        ;       Child Loop BB21_50 Depth 3
	v_ashrrev_i32_e32 v7, 31, v6
	v_lshl_add_u64 v[8:9], v[6:7], 2, s[6:7]
	global_load_dword v12, v[8:9], off
	v_lshl_add_u64 v[10:11], v[6:7], 3, s[8:9]
	global_load_dwordx2 v[8:9], v[10:11], off
	s_mov_b64 s[22:23], 0
	s_waitcnt vmcnt(1)
	v_subrev_u32_e32 v12, s28, v12
	v_ashrrev_i32_e32 v13, 31, v12
	v_lshlrev_b64 v[12:13], 2, v[12:13]
	v_lshl_add_u64 v[20:21], s[4:5], 0, v[12:13]
	v_lshl_add_u64 v[24:25], s[10:11], 0, v[12:13]
	global_load_dword v7, v[20:21], off offset:4
	global_load_dword v14, v[24:25], off
	v_lshl_add_u64 v[12:13], s[12:13], 0, v[12:13]
.LBB21_36:                              ;   Parent Loop BB21_35 Depth=1
                                        ; =>  This Inner Loop Header: Depth=2
	global_load_dword v15, v[12:13], off sc1
	s_waitcnt vmcnt(0)
	v_cmp_ne_u32_e32 vcc, 0, v15
	s_or_b64 s[22:23], vcc, s[22:23]
	s_andn2_b64 exec, exec, s[22:23]
	s_cbranch_execnz .LBB21_36
; %bb.37:                               ;   in Loop: Header=BB21_35 Depth=1
	s_or_b64 exec, exec, s[22:23]
	v_subrev_u32_e32 v7, s28, v7
	v_add_u32_e32 v12, -1, v7
	v_cmp_eq_u32_e32 vcc, -1, v14
	buffer_inv sc1
	s_mov_b64 s[24:25], -1
	v_cndmask_b32_e32 v12, v14, v12, vcc
	v_ashrrev_i32_e32 v13, 31, v12
	v_lshl_add_u64 v[14:15], v[12:13], 3, s[8:9]
	global_load_dwordx2 v[14:15], v[14:15], off
	s_waitcnt vmcnt(0)
	v_cmp_neq_f64_e32 vcc, 0, v[14:15]
	s_and_saveexec_b64 s[22:23], vcc
	s_cbranch_execz .LBB21_34
; %bb.38:                               ;   in Loop: Header=BB21_35 Depth=1
	v_div_scale_f64 v[20:21], s[24:25], v[14:15], v[14:15], v[8:9]
	v_rcp_f64_e32 v[24:25], v[20:21]
	v_div_scale_f64 v[26:27], vcc, v[8:9], v[14:15], v[8:9]
	v_fma_f64 v[28:29], -v[20:21], v[24:25], 1.0
	v_fmac_f64_e32 v[24:25], v[24:25], v[28:29]
	v_fma_f64 v[28:29], -v[20:21], v[24:25], 1.0
	v_fmac_f64_e32 v[24:25], v[24:25], v[28:29]
	v_mul_f64 v[28:29], v[26:27], v[24:25]
	v_fma_f64 v[20:21], -v[20:21], v[28:29], v[26:27]
	v_div_fmas_f64 v[20:21], v[20:21], v[24:25], v[28:29]
	v_div_fixup_f64 v[8:9], v[20:21], v[14:15], v[8:9]
	global_store_dwordx2 v[10:11], v[8:9], off
	v_add_u32_e32 v10, v19, v12
	v_cmp_lt_i32_e32 vcc, v10, v7
	s_and_saveexec_b64 s[24:25], vcc
	s_cbranch_execz .LBB21_33
; %bb.39:                               ;   in Loop: Header=BB21_35 Depth=1
	s_mov_b64 s[26:27], 0
	s_branch .LBB21_41
.LBB21_40:                              ;   in Loop: Header=BB21_41 Depth=2
	s_or_b64 exec, exec, s[34:35]
	v_add_u32_e32 v10, 64, v10
	v_cmp_ge_i32_e32 vcc, v10, v7
	s_or_b64 s[26:27], vcc, s[26:27]
	s_andn2_b64 exec, exec, s[26:27]
	s_cbranch_execz .LBB21_33
.LBB21_41:                              ;   Parent Loop BB21_35 Depth=1
                                        ; =>  This Loop Header: Depth=2
                                        ;       Child Loop BB21_50 Depth 3
	v_ashrrev_i32_e32 v11, 31, v10
	v_lshl_add_u64 v[12:13], v[10:11], 2, s[6:7]
	global_load_dword v12, v[12:13], off
	v_mov_b32_e32 v13, 0x80
	s_mov_b64 s[36:37], 0
                                        ; implicit-def: $sgpr34_sgpr35
                                        ; implicit-def: $sgpr38_sgpr39
                                        ; implicit-def: $sgpr40_sgpr41
	s_waitcnt vmcnt(0)
	v_mul_lo_u32 v15, v12, s29
	s_branch .LBB21_50
.LBB21_42:                              ;   in Loop: Header=BB21_50 Depth=3
	s_or_b64 exec, exec, s[60:61]
	s_orn2_b64 s[56:57], s[56:57], exec
	s_orn2_b64 s[58:59], s[58:59], exec
.LBB21_43:                              ;   in Loop: Header=BB21_50 Depth=3
	s_or_b64 exec, exec, s[54:55]
	s_and_b64 s[56:57], s[56:57], exec
	s_orn2_b64 s[54:55], s[58:59], exec
.LBB21_44:                              ;   in Loop: Header=BB21_50 Depth=3
	s_or_b64 exec, exec, s[52:53]
	s_orn2_b64 s[56:57], s[56:57], exec
	s_orn2_b64 s[52:53], s[54:55], exec
.LBB21_45:                              ;   in Loop: Header=BB21_50 Depth=3
	s_or_b64 exec, exec, s[50:51]
	s_and_b64 s[54:55], s[56:57], exec
	s_orn2_b64 s[50:51], s[52:53], exec
.LBB21_46:                              ;   in Loop: Header=BB21_50 Depth=3
	s_or_b64 exec, exec, s[48:49]
	s_orn2_b64 s[48:49], s[54:55], exec
	s_orn2_b64 s[50:51], s[50:51], exec
.LBB21_47:                              ;   in Loop: Header=BB21_50 Depth=3
	s_or_b64 exec, exec, s[46:47]
	s_and_b64 s[48:49], s[48:49], exec
	s_orn2_b64 s[46:47], s[50:51], exec
.LBB21_48:                              ;   in Loop: Header=BB21_50 Depth=3
	s_or_b64 exec, exec, s[44:45]
	s_andn2_b64 s[40:41], s[40:41], exec
	s_and_b64 s[44:45], s[48:49], exec
	s_or_b64 s[40:41], s[40:41], s[44:45]
	s_andn2_b64 s[38:39], s[38:39], exec
	s_and_b64 s[44:45], s[46:47], exec
	s_or_b64 s[38:39], s[38:39], s[44:45]
.LBB21_49:                              ;   in Loop: Header=BB21_50 Depth=3
	s_or_b64 exec, exec, s[42:43]
	s_and_b64 s[42:43], exec, s[38:39]
	s_or_b64 s[36:37], s[42:43], s[36:37]
	s_andn2_b64 s[34:35], s[34:35], exec
	s_and_b64 s[42:43], s[40:41], exec
	s_or_b64 s[34:35], s[34:35], s[42:43]
	s_andn2_b64 exec, exec, s[36:37]
	s_cbranch_execz .LBB21_59
.LBB21_50:                              ;   Parent Loop BB21_35 Depth=1
                                        ;     Parent Loop BB21_41 Depth=2
                                        ; =>    This Inner Loop Header: Depth=3
	v_and_b32_e32 v14, 0x7f, v15
	v_lshl_add_u32 v20, v14, 2, v5
	ds_read_b32 v20, v20
	s_or_b64 s[40:41], s[40:41], exec
	s_or_b64 s[38:39], s[38:39], exec
	s_waitcnt lgkmcnt(0)
	v_cmp_ne_u32_e32 vcc, -1, v20
	s_and_saveexec_b64 s[42:43], vcc
	s_cbranch_execz .LBB21_49
; %bb.51:                               ;   in Loop: Header=BB21_50 Depth=3
	v_cmp_ne_u32_e32 vcc, v20, v12
	s_mov_b64 s[46:47], -1
	s_mov_b64 s[48:49], 0
	s_and_saveexec_b64 s[44:45], vcc
	s_cbranch_execz .LBB21_48
; %bb.52:                               ;   in Loop: Header=BB21_50 Depth=3
	v_add_u32_e32 v14, 1, v15
	v_and_b32_e32 v14, 0x7f, v14
	v_lshl_add_u32 v20, v14, 2, v5
	ds_read_b32 v20, v20
	s_mov_b64 s[50:51], -1
	s_mov_b64 s[48:49], -1
	s_waitcnt lgkmcnt(0)
	v_cmp_ne_u32_e32 vcc, -1, v20
	s_and_saveexec_b64 s[46:47], vcc
	s_cbranch_execz .LBB21_47
; %bb.53:                               ;   in Loop: Header=BB21_50 Depth=3
	v_cmp_ne_u32_e32 vcc, v20, v12
	s_mov_b64 s[54:55], 0
	s_and_saveexec_b64 s[48:49], vcc
	s_cbranch_execz .LBB21_46
; %bb.54:                               ;   in Loop: Header=BB21_50 Depth=3
	v_add_u32_e32 v14, 2, v15
	v_and_b32_e32 v14, 0x7f, v14
	v_lshl_add_u32 v20, v14, 2, v5
	ds_read_b32 v20, v20
	s_mov_b64 s[52:53], -1
	s_mov_b64 s[56:57], -1
	s_waitcnt lgkmcnt(0)
	v_cmp_ne_u32_e32 vcc, -1, v20
	s_and_saveexec_b64 s[50:51], vcc
	s_cbranch_execz .LBB21_45
; %bb.55:                               ;   in Loop: Header=BB21_50 Depth=3
	v_cmp_ne_u32_e32 vcc, v20, v12
	s_mov_b64 s[54:55], -1
	s_mov_b64 s[56:57], 0
	s_and_saveexec_b64 s[52:53], vcc
	s_cbranch_execz .LBB21_44
; %bb.56:                               ;   in Loop: Header=BB21_50 Depth=3
	v_add_u32_e32 v14, 3, v15
	v_and_b32_e32 v14, 0x7f, v14
	v_lshl_add_u32 v15, v14, 2, v5
	ds_read_b32 v20, v15
	s_mov_b64 s[58:59], -1
	s_mov_b64 s[56:57], -1
                                        ; implicit-def: $vgpr15
	s_waitcnt lgkmcnt(0)
	v_cmp_ne_u32_e32 vcc, -1, v20
	s_and_saveexec_b64 s[54:55], vcc
	s_cbranch_execz .LBB21_43
; %bb.57:                               ;   in Loop: Header=BB21_50 Depth=3
	v_cmp_ne_u32_e32 vcc, v20, v12
	s_mov_b64 s[56:57], 0
                                        ; implicit-def: $vgpr15
	s_and_saveexec_b64 s[60:61], vcc
	s_cbranch_execz .LBB21_42
; %bb.58:                               ;   in Loop: Header=BB21_50 Depth=3
	v_add_u32_e32 v13, -4, v13
	v_cmp_eq_u32_e32 vcc, 0, v13
	s_mov_b64 s[56:57], exec
	v_add_u32_e32 v15, 1, v14
	s_orn2_b64 s[58:59], vcc, exec
	s_branch .LBB21_42
.LBB21_59:                              ;   in Loop: Header=BB21_41 Depth=2
	s_or_b64 exec, exec, s[36:37]
	s_xor_b64 s[34:35], s[34:35], -1
	s_and_saveexec_b64 s[36:37], s[34:35]
	s_xor_b64 s[34:35], exec, s[36:37]
	s_cbranch_execz .LBB21_40
; %bb.60:                               ;   in Loop: Header=BB21_41 Depth=2
	v_lshl_add_u32 v12, v14, 2, v18
	ds_read_b32 v12, v12
	v_lshl_add_u64 v[14:15], v[10:11], 3, s[8:9]
	s_waitcnt lgkmcnt(0)
	v_ashrrev_i32_e32 v13, 31, v12
	v_lshl_add_u64 v[12:13], v[12:13], 3, s[8:9]
	global_load_dwordx2 v[20:21], v[14:15], off
	global_load_dwordx2 v[24:25], v[12:13], off
	s_waitcnt vmcnt(0)
	v_fma_f64 v[14:15], -v[8:9], v[20:21], v[24:25]
	global_store_dwordx2 v[12:13], v[14:15], off
	s_branch .LBB21_40
.LBB21_61:
	s_or_b64 exec, exec, s[2:3]
	v_cmp_lt_i32_e32 vcc, -1, v4
	s_and_saveexec_b64 s[6:7], vcc
	s_cbranch_execz .LBB21_77
; %bb.62:
	v_mov_b32_e32 v5, 0
	v_lshl_add_u64 v[8:9], v[4:5], 3, s[8:9]
	global_load_dwordx2 v[4:5], v[8:9], off
	v_cmp_eq_u32_e64 s[2:3], 0, v16
	s_andn2_b64 vcc, exec, s[30:31]
	s_waitcnt vmcnt(0)
	v_xor_b32_e32 v7, 0x80000000, v5
	v_cmp_gt_f64_e64 s[4:5], 0, v[4:5]
	v_mov_b32_e32 v6, v4
	s_nop 0
	v_cndmask_b32_e64 v7, v5, v7, s[4:5]
	s_mov_b64 s[4:5], -1
	s_cbranch_vccnz .LBB21_66
; %bb.63:
	s_cmp_eq_u64 s[20:21], 8
	v_cvt_f64_f32_e32 v[10:11], v17
	s_cselect_b64 vcc, -1, 0
	v_cndmask_b32_e32 v3, v11, v3, vcc
	v_cndmask_b32_e32 v2, v10, v2, vcc
	v_cmp_le_f64_e32 vcc, v[6:7], v[2:3]
	s_and_b64 s[8:9], s[2:3], vcc
	s_and_saveexec_b64 s[4:5], s[8:9]
	s_cbranch_execz .LBB21_65
; %bb.64:
	global_store_dwordx2 v[8:9], v[22:23], off
	buffer_wbl2 sc1
	s_waitcnt vmcnt(0)
	buffer_inv sc1
.LBB21_65:
	s_or_b64 exec, exec, s[4:5]
	s_mov_b64 s[4:5], 0
.LBB21_66:
	s_andn2_b64 vcc, exec, s[4:5]
	s_cbranch_vccnz .LBB21_77
; %bb.67:
	s_load_dwordx2 s[0:1], s[0:1], 0x48
	v_add_u32_e32 v2, s28, v0
	s_waitcnt lgkmcnt(0)
	v_cmp_ge_f64_e32 vcc, s[0:1], v[6:7]
	s_and_b64 s[4:5], s[2:3], vcc
	s_and_saveexec_b64 s[0:1], s[4:5]
	s_cbranch_execz .LBB21_72
; %bb.68:
	s_mov_b64 s[4:5], exec
	s_brev_b32 s8, -2
.LBB21_69:                              ; =>This Inner Loop Header: Depth=1
	s_ff1_i32_b64 s9, s[4:5]
	v_readlane_b32 s14, v2, s9
	s_lshl_b64 s[10:11], 1, s9
	s_min_i32 s8, s8, s14
	s_andn2_b64 s[4:5], s[4:5], s[10:11]
	s_cmp_lg_u64 s[4:5], 0
	s_cbranch_scc1 .LBB21_69
; %bb.70:
	v_mbcnt_lo_u32_b32 v3, exec_lo, 0
	v_mbcnt_hi_u32_b32 v3, exec_hi, v3
	v_cmp_eq_u32_e32 vcc, 0, v3
	s_and_saveexec_b64 s[4:5], vcc
	s_xor_b64 s[4:5], exec, s[4:5]
	s_cbranch_execz .LBB21_72
; %bb.71:
	v_mov_b32_e32 v3, 0
	v_mov_b32_e32 v6, s8
	global_atomic_smin v3, v6, s[18:19]
.LBB21_72:
	s_or_b64 exec, exec, s[0:1]
	v_cmp_eq_f64_e32 vcc, 0, v[4:5]
	s_and_b64 s[0:1], s[2:3], vcc
	s_and_b64 exec, exec, s[0:1]
	s_cbranch_execz .LBB21_77
; %bb.73:
	s_mov_b64 s[0:1], exec
	s_brev_b32 s2, -2
.LBB21_74:                              ; =>This Inner Loop Header: Depth=1
	s_ff1_i32_b64 s3, s[0:1]
	v_readlane_b32 s8, v2, s3
	s_lshl_b64 s[4:5], 1, s3
	s_min_i32 s2, s2, s8
	s_andn2_b64 s[0:1], s[0:1], s[4:5]
	s_cmp_lg_u64 s[0:1], 0
	s_cbranch_scc1 .LBB21_74
; %bb.75:
	v_mbcnt_lo_u32_b32 v2, exec_lo, 0
	v_mbcnt_hi_u32_b32 v2, exec_hi, v2
	v_cmp_eq_u32_e32 vcc, 0, v2
	s_and_saveexec_b64 s[0:1], vcc
	s_xor_b64 s[0:1], exec, s[0:1]
	s_cbranch_execz .LBB21_77
; %bb.76:
	v_mov_b32_e32 v2, 0
	v_mov_b32_e32 v3, s2
	global_atomic_smin v2, v3, s[16:17]
.LBB21_77:
	s_or_b64 exec, exec, s[6:7]
	v_cmp_eq_u32_e32 vcc, 0, v16
	buffer_wbl2 sc1
	s_waitcnt vmcnt(0)
	buffer_inv sc1
	s_and_b64 exec, exec, vcc
	s_cbranch_execz .LBB21_79
; %bb.78:
	v_lshl_add_u64 v[0:1], v[0:1], 2, s[12:13]
	v_mov_b32_e32 v2, 1
	buffer_wbl2 sc1
	global_store_dword v[0:1], v2, off sc1
.LBB21_79:
	s_endpgm
	.section	.rodata,"a",@progbits
	.p2align	6, 0x0
	.amdhsa_kernel _ZN9rocsparseL12csrilu0_hashILj256ELj64ELj2EdEEviPKiS2_PT2_S2_PiS2_S5_S5_d21rocsparse_index_base_imNS_24const_host_device_scalarIfEENS7_IdEENS7_IS3_EEb
		.amdhsa_group_segment_fixed_size 4096
		.amdhsa_private_segment_fixed_size 0
		.amdhsa_kernarg_size 124
		.amdhsa_user_sgpr_count 2
		.amdhsa_user_sgpr_dispatch_ptr 0
		.amdhsa_user_sgpr_queue_ptr 0
		.amdhsa_user_sgpr_kernarg_segment_ptr 1
		.amdhsa_user_sgpr_dispatch_id 0
		.amdhsa_user_sgpr_kernarg_preload_length 0
		.amdhsa_user_sgpr_kernarg_preload_offset 0
		.amdhsa_user_sgpr_private_segment_size 0
		.amdhsa_uses_dynamic_stack 0
		.amdhsa_enable_private_segment 0
		.amdhsa_system_sgpr_workgroup_id_x 1
		.amdhsa_system_sgpr_workgroup_id_y 0
		.amdhsa_system_sgpr_workgroup_id_z 0
		.amdhsa_system_sgpr_workgroup_info 0
		.amdhsa_system_vgpr_workitem_id 0
		.amdhsa_next_free_vgpr 30
		.amdhsa_next_free_sgpr 62
		.amdhsa_accum_offset 32
		.amdhsa_reserve_vcc 1
		.amdhsa_float_round_mode_32 0
		.amdhsa_float_round_mode_16_64 0
		.amdhsa_float_denorm_mode_32 3
		.amdhsa_float_denorm_mode_16_64 3
		.amdhsa_dx10_clamp 1
		.amdhsa_ieee_mode 1
		.amdhsa_fp16_overflow 0
		.amdhsa_tg_split 0
		.amdhsa_exception_fp_ieee_invalid_op 0
		.amdhsa_exception_fp_denorm_src 0
		.amdhsa_exception_fp_ieee_div_zero 0
		.amdhsa_exception_fp_ieee_overflow 0
		.amdhsa_exception_fp_ieee_underflow 0
		.amdhsa_exception_fp_ieee_inexact 0
		.amdhsa_exception_int_div_zero 0
	.end_amdhsa_kernel
	.section	.text._ZN9rocsparseL12csrilu0_hashILj256ELj64ELj2EdEEviPKiS2_PT2_S2_PiS2_S5_S5_d21rocsparse_index_base_imNS_24const_host_device_scalarIfEENS7_IdEENS7_IS3_EEb,"axG",@progbits,_ZN9rocsparseL12csrilu0_hashILj256ELj64ELj2EdEEviPKiS2_PT2_S2_PiS2_S5_S5_d21rocsparse_index_base_imNS_24const_host_device_scalarIfEENS7_IdEENS7_IS3_EEb,comdat
.Lfunc_end21:
	.size	_ZN9rocsparseL12csrilu0_hashILj256ELj64ELj2EdEEviPKiS2_PT2_S2_PiS2_S5_S5_d21rocsparse_index_base_imNS_24const_host_device_scalarIfEENS7_IdEENS7_IS3_EEb, .Lfunc_end21-_ZN9rocsparseL12csrilu0_hashILj256ELj64ELj2EdEEviPKiS2_PT2_S2_PiS2_S5_S5_d21rocsparse_index_base_imNS_24const_host_device_scalarIfEENS7_IdEENS7_IS3_EEb
                                        ; -- End function
	.set _ZN9rocsparseL12csrilu0_hashILj256ELj64ELj2EdEEviPKiS2_PT2_S2_PiS2_S5_S5_d21rocsparse_index_base_imNS_24const_host_device_scalarIfEENS7_IdEENS7_IS3_EEb.num_vgpr, 30
	.set _ZN9rocsparseL12csrilu0_hashILj256ELj64ELj2EdEEviPKiS2_PT2_S2_PiS2_S5_S5_d21rocsparse_index_base_imNS_24const_host_device_scalarIfEENS7_IdEENS7_IS3_EEb.num_agpr, 0
	.set _ZN9rocsparseL12csrilu0_hashILj256ELj64ELj2EdEEviPKiS2_PT2_S2_PiS2_S5_S5_d21rocsparse_index_base_imNS_24const_host_device_scalarIfEENS7_IdEENS7_IS3_EEb.numbered_sgpr, 62
	.set _ZN9rocsparseL12csrilu0_hashILj256ELj64ELj2EdEEviPKiS2_PT2_S2_PiS2_S5_S5_d21rocsparse_index_base_imNS_24const_host_device_scalarIfEENS7_IdEENS7_IS3_EEb.num_named_barrier, 0
	.set _ZN9rocsparseL12csrilu0_hashILj256ELj64ELj2EdEEviPKiS2_PT2_S2_PiS2_S5_S5_d21rocsparse_index_base_imNS_24const_host_device_scalarIfEENS7_IdEENS7_IS3_EEb.private_seg_size, 0
	.set _ZN9rocsparseL12csrilu0_hashILj256ELj64ELj2EdEEviPKiS2_PT2_S2_PiS2_S5_S5_d21rocsparse_index_base_imNS_24const_host_device_scalarIfEENS7_IdEENS7_IS3_EEb.uses_vcc, 1
	.set _ZN9rocsparseL12csrilu0_hashILj256ELj64ELj2EdEEviPKiS2_PT2_S2_PiS2_S5_S5_d21rocsparse_index_base_imNS_24const_host_device_scalarIfEENS7_IdEENS7_IS3_EEb.uses_flat_scratch, 0
	.set _ZN9rocsparseL12csrilu0_hashILj256ELj64ELj2EdEEviPKiS2_PT2_S2_PiS2_S5_S5_d21rocsparse_index_base_imNS_24const_host_device_scalarIfEENS7_IdEENS7_IS3_EEb.has_dyn_sized_stack, 0
	.set _ZN9rocsparseL12csrilu0_hashILj256ELj64ELj2EdEEviPKiS2_PT2_S2_PiS2_S5_S5_d21rocsparse_index_base_imNS_24const_host_device_scalarIfEENS7_IdEENS7_IS3_EEb.has_recursion, 0
	.set _ZN9rocsparseL12csrilu0_hashILj256ELj64ELj2EdEEviPKiS2_PT2_S2_PiS2_S5_S5_d21rocsparse_index_base_imNS_24const_host_device_scalarIfEENS7_IdEENS7_IS3_EEb.has_indirect_call, 0
	.section	.AMDGPU.csdata,"",@progbits
; Kernel info:
; codeLenInByte = 2456
; TotalNumSgprs: 68
; NumVgprs: 30
; NumAgprs: 0
; TotalNumVgprs: 30
; ScratchSize: 0
; MemoryBound: 0
; FloatMode: 240
; IeeeMode: 1
; LDSByteSize: 4096 bytes/workgroup (compile time only)
; SGPRBlocks: 8
; VGPRBlocks: 3
; NumSGPRsForWavesPerEU: 68
; NumVGPRsForWavesPerEU: 30
; AccumOffset: 32
; Occupancy: 8
; WaveLimiterHint : 1
; COMPUTE_PGM_RSRC2:SCRATCH_EN: 0
; COMPUTE_PGM_RSRC2:USER_SGPR: 2
; COMPUTE_PGM_RSRC2:TRAP_HANDLER: 0
; COMPUTE_PGM_RSRC2:TGID_X_EN: 1
; COMPUTE_PGM_RSRC2:TGID_Y_EN: 0
; COMPUTE_PGM_RSRC2:TGID_Z_EN: 0
; COMPUTE_PGM_RSRC2:TIDIG_COMP_CNT: 0
; COMPUTE_PGM_RSRC3_GFX90A:ACCUM_OFFSET: 7
; COMPUTE_PGM_RSRC3_GFX90A:TG_SPLIT: 0
	.section	.text._ZN9rocsparseL12csrilu0_hashILj256ELj64ELj4EdEEviPKiS2_PT2_S2_PiS2_S5_S5_d21rocsparse_index_base_imNS_24const_host_device_scalarIfEENS7_IdEENS7_IS3_EEb,"axG",@progbits,_ZN9rocsparseL12csrilu0_hashILj256ELj64ELj4EdEEviPKiS2_PT2_S2_PiS2_S5_S5_d21rocsparse_index_base_imNS_24const_host_device_scalarIfEENS7_IdEENS7_IS3_EEb,comdat
	.globl	_ZN9rocsparseL12csrilu0_hashILj256ELj64ELj4EdEEviPKiS2_PT2_S2_PiS2_S5_S5_d21rocsparse_index_base_imNS_24const_host_device_scalarIfEENS7_IdEENS7_IS3_EEb ; -- Begin function _ZN9rocsparseL12csrilu0_hashILj256ELj64ELj4EdEEviPKiS2_PT2_S2_PiS2_S5_S5_d21rocsparse_index_base_imNS_24const_host_device_scalarIfEENS7_IdEENS7_IS3_EEb
	.p2align	8
	.type	_ZN9rocsparseL12csrilu0_hashILj256ELj64ELj4EdEEviPKiS2_PT2_S2_PiS2_S5_S5_d21rocsparse_index_base_imNS_24const_host_device_scalarIfEENS7_IdEENS7_IS3_EEb,@function
_ZN9rocsparseL12csrilu0_hashILj256ELj64ELj4EdEEviPKiS2_PT2_S2_PiS2_S5_S5_d21rocsparse_index_base_imNS_24const_host_device_scalarIfEENS7_IdEENS7_IS3_EEb: ; @_ZN9rocsparseL12csrilu0_hashILj256ELj64ELj4EdEEviPKiS2_PT2_S2_PiS2_S5_S5_d21rocsparse_index_base_imNS_24const_host_device_scalarIfEENS7_IdEENS7_IS3_EEb
; %bb.0:
	s_load_dword s3, s[0:1], 0x78
	s_load_dwordx2 s[28:29], s[0:1], 0x50
	s_load_dwordx8 s[20:27], s[0:1], 0x58
	s_waitcnt lgkmcnt(0)
	s_bitcmp1_b32 s3, 0
	s_cselect_b64 s[4:5], -1, 0
	s_cmp_eq_u32 s29, 0
	s_cselect_b64 s[6:7], -1, 0
	s_cmp_lg_u32 s29, 0
	s_cselect_b64 s[30:31], -1, 0
	s_or_b64 s[4:5], s[6:7], s[4:5]
	s_xor_b64 s[8:9], s[4:5], -1
	s_and_b64 s[10:11], s[6:7], exec
	s_cselect_b32 s11, 0, s25
	s_cselect_b32 s10, 0, s24
	s_and_b64 vcc, exec, s[4:5]
	s_cbranch_vccnz .LBB22_2
; %bb.1:
	s_load_dword s3, s[22:23], 0x0
	s_mov_b64 s[10:11], s[24:25]
	s_waitcnt lgkmcnt(0)
	v_mov_b32_e32 v17, s3
	s_branch .LBB22_3
.LBB22_2:
	v_mov_b32_e32 v1, s22
	v_cndmask_b32_e64 v17, v1, 0, s[6:7]
.LBB22_3:
	v_cndmask_b32_e64 v1, 0, 1, s[8:9]
	v_cmp_ne_u32_e64 s[4:5], 1, v1
	s_andn2_b64 vcc, exec, s[8:9]
	v_mov_b64_e32 v[2:3], s[10:11]
	s_cbranch_vccnz .LBB22_5
; %bb.4:
	v_mov_b64_e32 v[2:3], s[24:25]
	flat_load_dwordx2 v[2:3], v[2:3]
.LBB22_5:
	s_and_b64 s[6:7], s[6:7], exec
	s_cselect_b32 s7, 0, s27
	s_cselect_b32 s6, 0, s26
	s_and_b64 vcc, exec, s[4:5]
	v_mov_b64_e32 v[22:23], s[6:7]
	s_cbranch_vccnz .LBB22_7
; %bb.6:
	v_mov_b64_e32 v[4:5], s[26:27]
	flat_load_dwordx2 v[22:23], v[4:5]
.LBB22_7:
	s_load_dword s3, s[0:1], 0x0
	v_lshlrev_b32_e32 v1, 2, v0
	s_lshl_b32 s2, s2, 2
	v_and_b32_e32 v16, 63, v0
	v_and_b32_e32 v6, 0x300, v1
	v_mov_b32_e32 v1, 0x1000
	v_lshrrev_b32_e32 v0, 6, v0
	s_and_b32 s2, s2, 0x3fffffc
	v_lshl_or_b32 v5, v6, 2, v1
	v_or_b32_e32 v0, s2, v0
	v_lshl_or_b32 v1, v16, 2, v5
	v_mov_b32_e32 v4, -1
	s_waitcnt lgkmcnt(0)
	v_cmp_gt_i32_e32 vcc, s3, v0
	ds_write2st64_b32 v1, v4, v4 offset1:1
	ds_write2st64_b32 v1, v4, v4 offset0:2 offset1:3
	s_waitcnt lgkmcnt(0)
	s_and_saveexec_b64 s[2:3], vcc
	s_cbranch_execz .LBB22_79
; %bb.8:
	s_load_dwordx16 s[4:19], s[0:1], 0x8
	v_lshlrev_b32_e32 v0, 2, v0
	v_lshlrev_b32_e32 v18, 2, v6
	s_waitcnt lgkmcnt(0)
	global_load_dword v0, v0, s[14:15]
	s_waitcnt vmcnt(0)
	v_ashrrev_i32_e32 v1, 31, v0
	v_lshlrev_b64 v[8:9], 2, v[0:1]
	v_lshl_add_u64 v[10:11], s[4:5], 0, v[8:9]
	global_load_dwordx2 v[10:11], v[10:11], off
	v_lshl_add_u64 v[8:9], s[10:11], 0, v[8:9]
	global_load_dword v4, v[8:9], off
	s_waitcnt vmcnt(1)
	v_subrev_u32_e32 v6, s28, v10
	v_subrev_u32_e32 v7, s28, v11
	v_add_u32_e32 v8, v6, v16
	v_cmp_lt_i32_e32 vcc, v8, v7
	s_and_saveexec_b64 s[2:3], vcc
	s_cbranch_execz .LBB22_31
; %bb.9:
	s_mov_b64 s[14:15], 0
	s_movk_i32 s29, 0x67
	v_mov_b32_e32 v10, -1
	s_branch .LBB22_11
.LBB22_10:                              ;   in Loop: Header=BB22_11 Depth=1
	s_or_b64 exec, exec, s[22:23]
	v_add_u32_e32 v8, 64, v8
	v_cmp_ge_i32_e32 vcc, v8, v7
	s_or_b64 s[14:15], vcc, s[14:15]
	s_andn2_b64 exec, exec, s[14:15]
	s_cbranch_execz .LBB22_31
.LBB22_11:                              ; =>This Loop Header: Depth=1
                                        ;     Child Loop BB22_20 Depth 2
	v_ashrrev_i32_e32 v9, 31, v8
	v_lshl_add_u64 v[12:13], v[8:9], 2, s[6:7]
	global_load_dword v9, v[12:13], off
	v_mov_b32_e32 v11, 0x100
	s_mov_b64 s[24:25], 0
                                        ; implicit-def: $sgpr22_sgpr23
                                        ; implicit-def: $sgpr26_sgpr27
                                        ; implicit-def: $sgpr34_sgpr35
	s_waitcnt vmcnt(0)
	v_mul_lo_u32 v13, v9, s29
	s_branch .LBB22_20
.LBB22_12:                              ;   in Loop: Header=BB22_20 Depth=2
	s_or_b64 exec, exec, s[54:55]
	s_orn2_b64 s[50:51], s[50:51], exec
	s_orn2_b64 s[52:53], s[52:53], exec
.LBB22_13:                              ;   in Loop: Header=BB22_20 Depth=2
	s_or_b64 exec, exec, s[48:49]
	s_and_b64 s[50:51], s[50:51], exec
	s_orn2_b64 s[48:49], s[52:53], exec
.LBB22_14:                              ;   in Loop: Header=BB22_20 Depth=2
	s_or_b64 exec, exec, s[46:47]
	s_orn2_b64 s[50:51], s[50:51], exec
	s_orn2_b64 s[46:47], s[48:49], exec
.LBB22_15:                              ;   in Loop: Header=BB22_20 Depth=2
	s_or_b64 exec, exec, s[44:45]
	s_and_b64 s[48:49], s[50:51], exec
	s_orn2_b64 s[44:45], s[46:47], exec
.LBB22_16:                              ;   in Loop: Header=BB22_20 Depth=2
	s_or_b64 exec, exec, s[42:43]
	s_orn2_b64 s[42:43], s[48:49], exec
	s_orn2_b64 s[44:45], s[44:45], exec
.LBB22_17:                              ;   in Loop: Header=BB22_20 Depth=2
	s_or_b64 exec, exec, s[40:41]
	s_and_b64 s[42:43], s[42:43], exec
	s_orn2_b64 s[40:41], s[44:45], exec
.LBB22_18:                              ;   in Loop: Header=BB22_20 Depth=2
	s_or_b64 exec, exec, s[38:39]
	s_andn2_b64 s[34:35], s[34:35], exec
	s_and_b64 s[38:39], s[42:43], exec
	s_or_b64 s[34:35], s[34:35], s[38:39]
	s_andn2_b64 s[26:27], s[26:27], exec
	s_and_b64 s[38:39], s[40:41], exec
	s_or_b64 s[26:27], s[26:27], s[38:39]
.LBB22_19:                              ;   in Loop: Header=BB22_20 Depth=2
	s_or_b64 exec, exec, s[36:37]
	s_and_b64 s[36:37], exec, s[26:27]
	s_or_b64 s[24:25], s[36:37], s[24:25]
	s_andn2_b64 s[22:23], s[22:23], exec
	s_and_b64 s[36:37], s[34:35], exec
	s_or_b64 s[22:23], s[22:23], s[36:37]
	s_andn2_b64 exec, exec, s[24:25]
	s_cbranch_execz .LBB22_29
.LBB22_20:                              ;   Parent Loop BB22_11 Depth=1
                                        ; =>  This Inner Loop Header: Depth=2
	v_and_b32_e32 v12, 0xff, v13
	v_lshl_add_u32 v14, v12, 2, v5
	ds_read_b32 v15, v14
	s_or_b64 s[34:35], s[34:35], exec
	s_or_b64 s[26:27], s[26:27], exec
	s_waitcnt lgkmcnt(0)
	v_cmp_ne_u32_e32 vcc, v15, v9
	s_and_saveexec_b64 s[36:37], vcc
	s_cbranch_execz .LBB22_19
; %bb.21:                               ;   in Loop: Header=BB22_20 Depth=2
	ds_cmpst_rtn_b32 v14, v14, v10, v9
	s_mov_b64 s[40:41], -1
	s_mov_b64 s[42:43], 0
	s_waitcnt lgkmcnt(0)
	v_cmp_ne_u32_e32 vcc, -1, v14
	s_and_saveexec_b64 s[38:39], vcc
	s_cbranch_execz .LBB22_18
; %bb.22:                               ;   in Loop: Header=BB22_20 Depth=2
	v_add_u32_e32 v12, 1, v13
	v_and_b32_e32 v12, 0xff, v12
	v_lshl_add_u32 v14, v12, 2, v5
	ds_read_b32 v15, v14
	s_mov_b64 s[44:45], -1
	s_mov_b64 s[42:43], -1
	s_waitcnt lgkmcnt(0)
	v_cmp_ne_u32_e32 vcc, v15, v9
	s_and_saveexec_b64 s[40:41], vcc
	s_cbranch_execz .LBB22_17
; %bb.23:                               ;   in Loop: Header=BB22_20 Depth=2
	ds_cmpst_rtn_b32 v14, v14, v10, v9
	s_mov_b64 s[48:49], 0
	s_waitcnt lgkmcnt(0)
	v_cmp_ne_u32_e32 vcc, -1, v14
	s_and_saveexec_b64 s[42:43], vcc
	s_cbranch_execz .LBB22_16
; %bb.24:                               ;   in Loop: Header=BB22_20 Depth=2
	v_add_u32_e32 v12, 2, v13
	v_and_b32_e32 v12, 0xff, v12
	v_lshl_add_u32 v14, v12, 2, v5
	ds_read_b32 v15, v14
	s_mov_b64 s[46:47], -1
	s_mov_b64 s[50:51], -1
	s_waitcnt lgkmcnt(0)
	v_cmp_ne_u32_e32 vcc, v15, v9
	s_and_saveexec_b64 s[44:45], vcc
	s_cbranch_execz .LBB22_15
; %bb.25:                               ;   in Loop: Header=BB22_20 Depth=2
	ds_cmpst_rtn_b32 v14, v14, v10, v9
	s_mov_b64 s[48:49], -1
	s_mov_b64 s[50:51], 0
	s_waitcnt lgkmcnt(0)
	v_cmp_ne_u32_e32 vcc, -1, v14
	s_and_saveexec_b64 s[46:47], vcc
	s_cbranch_execz .LBB22_14
; %bb.26:                               ;   in Loop: Header=BB22_20 Depth=2
	v_add_u32_e32 v12, 3, v13
	v_and_b32_e32 v12, 0xff, v12
	v_lshl_add_u32 v14, v12, 2, v5
	ds_read_b32 v13, v14
	s_mov_b64 s[52:53], -1
	s_mov_b64 s[50:51], -1
	s_waitcnt lgkmcnt(0)
	v_cmp_ne_u32_e32 vcc, v13, v9
                                        ; implicit-def: $vgpr13
	s_and_saveexec_b64 s[48:49], vcc
	s_cbranch_execz .LBB22_13
; %bb.27:                               ;   in Loop: Header=BB22_20 Depth=2
	ds_cmpst_rtn_b32 v13, v14, v10, v9
	s_mov_b64 s[50:51], 0
	s_waitcnt lgkmcnt(0)
	v_cmp_ne_u32_e32 vcc, -1, v13
                                        ; implicit-def: $vgpr13
	s_and_saveexec_b64 s[54:55], vcc
	s_cbranch_execz .LBB22_12
; %bb.28:                               ;   in Loop: Header=BB22_20 Depth=2
	v_add_u32_e32 v11, -4, v11
	v_cmp_eq_u32_e32 vcc, 0, v11
	s_mov_b64 s[50:51], exec
	v_add_u32_e32 v13, 1, v12
	s_orn2_b64 s[52:53], vcc, exec
	s_branch .LBB22_12
.LBB22_29:                              ;   in Loop: Header=BB22_11 Depth=1
	s_or_b64 exec, exec, s[24:25]
	s_xor_b64 s[22:23], s[22:23], -1
	s_and_saveexec_b64 s[24:25], s[22:23]
	s_xor_b64 s[22:23], exec, s[24:25]
	s_cbranch_execz .LBB22_10
; %bb.30:                               ;   in Loop: Header=BB22_11 Depth=1
	v_lshl_add_u32 v9, v12, 2, v18
	ds_write_b32 v9, v8
	s_branch .LBB22_10
.LBB22_31:
	s_or_b64 exec, exec, s[2:3]
	s_waitcnt vmcnt(0)
	v_cmp_lt_i32_e32 vcc, v6, v4
	s_waitcnt lgkmcnt(0)
	s_and_saveexec_b64 s[2:3], vcc
	s_cbranch_execz .LBB22_61
; %bb.32:
	v_add_u32_e32 v19, 1, v16
	s_mov_b64 s[14:15], 0
	s_movk_i32 s29, 0x67
	s_branch .LBB22_35
.LBB22_33:                              ;   in Loop: Header=BB22_35 Depth=1
	s_or_b64 exec, exec, s[24:25]
	v_add_u32_e32 v6, 1, v6
	v_cmp_ge_i32_e32 vcc, v6, v4
	s_orn2_b64 s[24:25], vcc, exec
.LBB22_34:                              ;   in Loop: Header=BB22_35 Depth=1
	s_or_b64 exec, exec, s[22:23]
	s_and_b64 s[22:23], exec, s[24:25]
	s_or_b64 s[14:15], s[22:23], s[14:15]
	s_andn2_b64 exec, exec, s[14:15]
	s_cbranch_execz .LBB22_61
.LBB22_35:                              ; =>This Loop Header: Depth=1
                                        ;     Child Loop BB22_36 Depth 2
                                        ;     Child Loop BB22_41 Depth 2
                                        ;       Child Loop BB22_50 Depth 3
	v_ashrrev_i32_e32 v7, 31, v6
	v_lshl_add_u64 v[8:9], v[6:7], 2, s[6:7]
	global_load_dword v12, v[8:9], off
	v_lshl_add_u64 v[10:11], v[6:7], 3, s[8:9]
	global_load_dwordx2 v[8:9], v[10:11], off
	s_mov_b64 s[22:23], 0
	s_waitcnt vmcnt(1)
	v_subrev_u32_e32 v12, s28, v12
	v_ashrrev_i32_e32 v13, 31, v12
	v_lshlrev_b64 v[12:13], 2, v[12:13]
	v_lshl_add_u64 v[20:21], s[4:5], 0, v[12:13]
	v_lshl_add_u64 v[24:25], s[10:11], 0, v[12:13]
	global_load_dword v7, v[20:21], off offset:4
	global_load_dword v14, v[24:25], off
	v_lshl_add_u64 v[12:13], s[12:13], 0, v[12:13]
.LBB22_36:                              ;   Parent Loop BB22_35 Depth=1
                                        ; =>  This Inner Loop Header: Depth=2
	global_load_dword v15, v[12:13], off sc1
	s_waitcnt vmcnt(0)
	v_cmp_ne_u32_e32 vcc, 0, v15
	s_or_b64 s[22:23], vcc, s[22:23]
	s_andn2_b64 exec, exec, s[22:23]
	s_cbranch_execnz .LBB22_36
; %bb.37:                               ;   in Loop: Header=BB22_35 Depth=1
	s_or_b64 exec, exec, s[22:23]
	v_subrev_u32_e32 v7, s28, v7
	v_add_u32_e32 v12, -1, v7
	v_cmp_eq_u32_e32 vcc, -1, v14
	buffer_inv sc1
	s_mov_b64 s[24:25], -1
	v_cndmask_b32_e32 v12, v14, v12, vcc
	v_ashrrev_i32_e32 v13, 31, v12
	v_lshl_add_u64 v[14:15], v[12:13], 3, s[8:9]
	global_load_dwordx2 v[14:15], v[14:15], off
	s_waitcnt vmcnt(0)
	v_cmp_neq_f64_e32 vcc, 0, v[14:15]
	s_and_saveexec_b64 s[22:23], vcc
	s_cbranch_execz .LBB22_34
; %bb.38:                               ;   in Loop: Header=BB22_35 Depth=1
	v_div_scale_f64 v[20:21], s[24:25], v[14:15], v[14:15], v[8:9]
	v_rcp_f64_e32 v[24:25], v[20:21]
	v_div_scale_f64 v[26:27], vcc, v[8:9], v[14:15], v[8:9]
	v_fma_f64 v[28:29], -v[20:21], v[24:25], 1.0
	v_fmac_f64_e32 v[24:25], v[24:25], v[28:29]
	v_fma_f64 v[28:29], -v[20:21], v[24:25], 1.0
	v_fmac_f64_e32 v[24:25], v[24:25], v[28:29]
	v_mul_f64 v[28:29], v[26:27], v[24:25]
	v_fma_f64 v[20:21], -v[20:21], v[28:29], v[26:27]
	v_div_fmas_f64 v[20:21], v[20:21], v[24:25], v[28:29]
	v_div_fixup_f64 v[8:9], v[20:21], v[14:15], v[8:9]
	global_store_dwordx2 v[10:11], v[8:9], off
	v_add_u32_e32 v10, v19, v12
	v_cmp_lt_i32_e32 vcc, v10, v7
	s_and_saveexec_b64 s[24:25], vcc
	s_cbranch_execz .LBB22_33
; %bb.39:                               ;   in Loop: Header=BB22_35 Depth=1
	s_mov_b64 s[26:27], 0
	s_branch .LBB22_41
.LBB22_40:                              ;   in Loop: Header=BB22_41 Depth=2
	s_or_b64 exec, exec, s[34:35]
	v_add_u32_e32 v10, 64, v10
	v_cmp_ge_i32_e32 vcc, v10, v7
	s_or_b64 s[26:27], vcc, s[26:27]
	s_andn2_b64 exec, exec, s[26:27]
	s_cbranch_execz .LBB22_33
.LBB22_41:                              ;   Parent Loop BB22_35 Depth=1
                                        ; =>  This Loop Header: Depth=2
                                        ;       Child Loop BB22_50 Depth 3
	v_ashrrev_i32_e32 v11, 31, v10
	v_lshl_add_u64 v[12:13], v[10:11], 2, s[6:7]
	global_load_dword v12, v[12:13], off
	v_mov_b32_e32 v13, 0x100
	s_mov_b64 s[36:37], 0
                                        ; implicit-def: $sgpr34_sgpr35
                                        ; implicit-def: $sgpr38_sgpr39
                                        ; implicit-def: $sgpr40_sgpr41
	s_waitcnt vmcnt(0)
	v_mul_lo_u32 v15, v12, s29
	s_branch .LBB22_50
.LBB22_42:                              ;   in Loop: Header=BB22_50 Depth=3
	s_or_b64 exec, exec, s[60:61]
	s_orn2_b64 s[56:57], s[56:57], exec
	s_orn2_b64 s[58:59], s[58:59], exec
.LBB22_43:                              ;   in Loop: Header=BB22_50 Depth=3
	s_or_b64 exec, exec, s[54:55]
	s_and_b64 s[56:57], s[56:57], exec
	s_orn2_b64 s[54:55], s[58:59], exec
.LBB22_44:                              ;   in Loop: Header=BB22_50 Depth=3
	s_or_b64 exec, exec, s[52:53]
	s_orn2_b64 s[56:57], s[56:57], exec
	s_orn2_b64 s[52:53], s[54:55], exec
.LBB22_45:                              ;   in Loop: Header=BB22_50 Depth=3
	s_or_b64 exec, exec, s[50:51]
	s_and_b64 s[54:55], s[56:57], exec
	s_orn2_b64 s[50:51], s[52:53], exec
.LBB22_46:                              ;   in Loop: Header=BB22_50 Depth=3
	s_or_b64 exec, exec, s[48:49]
	s_orn2_b64 s[48:49], s[54:55], exec
	s_orn2_b64 s[50:51], s[50:51], exec
.LBB22_47:                              ;   in Loop: Header=BB22_50 Depth=3
	s_or_b64 exec, exec, s[46:47]
	s_and_b64 s[48:49], s[48:49], exec
	s_orn2_b64 s[46:47], s[50:51], exec
.LBB22_48:                              ;   in Loop: Header=BB22_50 Depth=3
	s_or_b64 exec, exec, s[44:45]
	s_andn2_b64 s[40:41], s[40:41], exec
	s_and_b64 s[44:45], s[48:49], exec
	s_or_b64 s[40:41], s[40:41], s[44:45]
	s_andn2_b64 s[38:39], s[38:39], exec
	s_and_b64 s[44:45], s[46:47], exec
	s_or_b64 s[38:39], s[38:39], s[44:45]
.LBB22_49:                              ;   in Loop: Header=BB22_50 Depth=3
	s_or_b64 exec, exec, s[42:43]
	s_and_b64 s[42:43], exec, s[38:39]
	s_or_b64 s[36:37], s[42:43], s[36:37]
	s_andn2_b64 s[34:35], s[34:35], exec
	s_and_b64 s[42:43], s[40:41], exec
	s_or_b64 s[34:35], s[34:35], s[42:43]
	s_andn2_b64 exec, exec, s[36:37]
	s_cbranch_execz .LBB22_59
.LBB22_50:                              ;   Parent Loop BB22_35 Depth=1
                                        ;     Parent Loop BB22_41 Depth=2
                                        ; =>    This Inner Loop Header: Depth=3
	v_and_b32_e32 v14, 0xff, v15
	v_lshl_add_u32 v20, v14, 2, v5
	ds_read_b32 v20, v20
	s_or_b64 s[40:41], s[40:41], exec
	s_or_b64 s[38:39], s[38:39], exec
	s_waitcnt lgkmcnt(0)
	v_cmp_ne_u32_e32 vcc, -1, v20
	s_and_saveexec_b64 s[42:43], vcc
	s_cbranch_execz .LBB22_49
; %bb.51:                               ;   in Loop: Header=BB22_50 Depth=3
	v_cmp_ne_u32_e32 vcc, v20, v12
	s_mov_b64 s[46:47], -1
	s_mov_b64 s[48:49], 0
	s_and_saveexec_b64 s[44:45], vcc
	s_cbranch_execz .LBB22_48
; %bb.52:                               ;   in Loop: Header=BB22_50 Depth=3
	v_add_u32_e32 v14, 1, v15
	v_and_b32_e32 v14, 0xff, v14
	v_lshl_add_u32 v20, v14, 2, v5
	ds_read_b32 v20, v20
	s_mov_b64 s[50:51], -1
	s_mov_b64 s[48:49], -1
	s_waitcnt lgkmcnt(0)
	v_cmp_ne_u32_e32 vcc, -1, v20
	s_and_saveexec_b64 s[46:47], vcc
	s_cbranch_execz .LBB22_47
; %bb.53:                               ;   in Loop: Header=BB22_50 Depth=3
	v_cmp_ne_u32_e32 vcc, v20, v12
	s_mov_b64 s[54:55], 0
	s_and_saveexec_b64 s[48:49], vcc
	s_cbranch_execz .LBB22_46
; %bb.54:                               ;   in Loop: Header=BB22_50 Depth=3
	v_add_u32_e32 v14, 2, v15
	v_and_b32_e32 v14, 0xff, v14
	v_lshl_add_u32 v20, v14, 2, v5
	ds_read_b32 v20, v20
	s_mov_b64 s[52:53], -1
	s_mov_b64 s[56:57], -1
	s_waitcnt lgkmcnt(0)
	v_cmp_ne_u32_e32 vcc, -1, v20
	s_and_saveexec_b64 s[50:51], vcc
	s_cbranch_execz .LBB22_45
; %bb.55:                               ;   in Loop: Header=BB22_50 Depth=3
	v_cmp_ne_u32_e32 vcc, v20, v12
	s_mov_b64 s[54:55], -1
	s_mov_b64 s[56:57], 0
	s_and_saveexec_b64 s[52:53], vcc
	s_cbranch_execz .LBB22_44
; %bb.56:                               ;   in Loop: Header=BB22_50 Depth=3
	v_add_u32_e32 v14, 3, v15
	v_and_b32_e32 v14, 0xff, v14
	v_lshl_add_u32 v15, v14, 2, v5
	ds_read_b32 v20, v15
	s_mov_b64 s[58:59], -1
	s_mov_b64 s[56:57], -1
                                        ; implicit-def: $vgpr15
	s_waitcnt lgkmcnt(0)
	v_cmp_ne_u32_e32 vcc, -1, v20
	s_and_saveexec_b64 s[54:55], vcc
	s_cbranch_execz .LBB22_43
; %bb.57:                               ;   in Loop: Header=BB22_50 Depth=3
	v_cmp_ne_u32_e32 vcc, v20, v12
	s_mov_b64 s[56:57], 0
                                        ; implicit-def: $vgpr15
	s_and_saveexec_b64 s[60:61], vcc
	s_cbranch_execz .LBB22_42
; %bb.58:                               ;   in Loop: Header=BB22_50 Depth=3
	v_add_u32_e32 v13, -4, v13
	v_cmp_eq_u32_e32 vcc, 0, v13
	s_mov_b64 s[56:57], exec
	v_add_u32_e32 v15, 1, v14
	s_orn2_b64 s[58:59], vcc, exec
	s_branch .LBB22_42
.LBB22_59:                              ;   in Loop: Header=BB22_41 Depth=2
	s_or_b64 exec, exec, s[36:37]
	s_xor_b64 s[34:35], s[34:35], -1
	s_and_saveexec_b64 s[36:37], s[34:35]
	s_xor_b64 s[34:35], exec, s[36:37]
	s_cbranch_execz .LBB22_40
; %bb.60:                               ;   in Loop: Header=BB22_41 Depth=2
	v_lshl_add_u32 v12, v14, 2, v18
	ds_read_b32 v12, v12
	v_lshl_add_u64 v[14:15], v[10:11], 3, s[8:9]
	s_waitcnt lgkmcnt(0)
	v_ashrrev_i32_e32 v13, 31, v12
	v_lshl_add_u64 v[12:13], v[12:13], 3, s[8:9]
	global_load_dwordx2 v[20:21], v[14:15], off
	global_load_dwordx2 v[24:25], v[12:13], off
	s_waitcnt vmcnt(0)
	v_fma_f64 v[14:15], -v[8:9], v[20:21], v[24:25]
	global_store_dwordx2 v[12:13], v[14:15], off
	s_branch .LBB22_40
.LBB22_61:
	s_or_b64 exec, exec, s[2:3]
	v_cmp_lt_i32_e32 vcc, -1, v4
	s_and_saveexec_b64 s[6:7], vcc
	s_cbranch_execz .LBB22_77
; %bb.62:
	v_mov_b32_e32 v5, 0
	v_lshl_add_u64 v[8:9], v[4:5], 3, s[8:9]
	global_load_dwordx2 v[4:5], v[8:9], off
	v_cmp_eq_u32_e64 s[2:3], 0, v16
	s_andn2_b64 vcc, exec, s[30:31]
	s_waitcnt vmcnt(0)
	v_xor_b32_e32 v7, 0x80000000, v5
	v_cmp_gt_f64_e64 s[4:5], 0, v[4:5]
	v_mov_b32_e32 v6, v4
	s_nop 0
	v_cndmask_b32_e64 v7, v5, v7, s[4:5]
	s_mov_b64 s[4:5], -1
	s_cbranch_vccnz .LBB22_66
; %bb.63:
	s_cmp_eq_u64 s[20:21], 8
	v_cvt_f64_f32_e32 v[10:11], v17
	s_cselect_b64 vcc, -1, 0
	v_cndmask_b32_e32 v3, v11, v3, vcc
	v_cndmask_b32_e32 v2, v10, v2, vcc
	v_cmp_le_f64_e32 vcc, v[6:7], v[2:3]
	s_and_b64 s[8:9], s[2:3], vcc
	s_and_saveexec_b64 s[4:5], s[8:9]
	s_cbranch_execz .LBB22_65
; %bb.64:
	global_store_dwordx2 v[8:9], v[22:23], off
	buffer_wbl2 sc1
	s_waitcnt vmcnt(0)
	buffer_inv sc1
.LBB22_65:
	s_or_b64 exec, exec, s[4:5]
	s_mov_b64 s[4:5], 0
.LBB22_66:
	s_andn2_b64 vcc, exec, s[4:5]
	s_cbranch_vccnz .LBB22_77
; %bb.67:
	s_load_dwordx2 s[0:1], s[0:1], 0x48
	v_add_u32_e32 v2, s28, v0
	s_waitcnt lgkmcnt(0)
	v_cmp_ge_f64_e32 vcc, s[0:1], v[6:7]
	s_and_b64 s[4:5], s[2:3], vcc
	s_and_saveexec_b64 s[0:1], s[4:5]
	s_cbranch_execz .LBB22_72
; %bb.68:
	s_mov_b64 s[4:5], exec
	s_brev_b32 s8, -2
.LBB22_69:                              ; =>This Inner Loop Header: Depth=1
	s_ff1_i32_b64 s9, s[4:5]
	v_readlane_b32 s14, v2, s9
	s_lshl_b64 s[10:11], 1, s9
	s_min_i32 s8, s8, s14
	s_andn2_b64 s[4:5], s[4:5], s[10:11]
	s_cmp_lg_u64 s[4:5], 0
	s_cbranch_scc1 .LBB22_69
; %bb.70:
	v_mbcnt_lo_u32_b32 v3, exec_lo, 0
	v_mbcnt_hi_u32_b32 v3, exec_hi, v3
	v_cmp_eq_u32_e32 vcc, 0, v3
	s_and_saveexec_b64 s[4:5], vcc
	s_xor_b64 s[4:5], exec, s[4:5]
	s_cbranch_execz .LBB22_72
; %bb.71:
	v_mov_b32_e32 v3, 0
	v_mov_b32_e32 v6, s8
	global_atomic_smin v3, v6, s[18:19]
.LBB22_72:
	s_or_b64 exec, exec, s[0:1]
	v_cmp_eq_f64_e32 vcc, 0, v[4:5]
	s_and_b64 s[0:1], s[2:3], vcc
	s_and_b64 exec, exec, s[0:1]
	s_cbranch_execz .LBB22_77
; %bb.73:
	s_mov_b64 s[0:1], exec
	s_brev_b32 s2, -2
.LBB22_74:                              ; =>This Inner Loop Header: Depth=1
	s_ff1_i32_b64 s3, s[0:1]
	v_readlane_b32 s8, v2, s3
	s_lshl_b64 s[4:5], 1, s3
	s_min_i32 s2, s2, s8
	s_andn2_b64 s[0:1], s[0:1], s[4:5]
	s_cmp_lg_u64 s[0:1], 0
	s_cbranch_scc1 .LBB22_74
; %bb.75:
	v_mbcnt_lo_u32_b32 v2, exec_lo, 0
	v_mbcnt_hi_u32_b32 v2, exec_hi, v2
	v_cmp_eq_u32_e32 vcc, 0, v2
	s_and_saveexec_b64 s[0:1], vcc
	s_xor_b64 s[0:1], exec, s[0:1]
	s_cbranch_execz .LBB22_77
; %bb.76:
	v_mov_b32_e32 v2, 0
	v_mov_b32_e32 v3, s2
	global_atomic_smin v2, v3, s[16:17]
.LBB22_77:
	s_or_b64 exec, exec, s[6:7]
	v_cmp_eq_u32_e32 vcc, 0, v16
	buffer_wbl2 sc1
	s_waitcnt vmcnt(0)
	buffer_inv sc1
	s_and_b64 exec, exec, vcc
	s_cbranch_execz .LBB22_79
; %bb.78:
	v_lshl_add_u64 v[0:1], v[0:1], 2, s[12:13]
	v_mov_b32_e32 v2, 1
	buffer_wbl2 sc1
	global_store_dword v[0:1], v2, off sc1
.LBB22_79:
	s_endpgm
	.section	.rodata,"a",@progbits
	.p2align	6, 0x0
	.amdhsa_kernel _ZN9rocsparseL12csrilu0_hashILj256ELj64ELj4EdEEviPKiS2_PT2_S2_PiS2_S5_S5_d21rocsparse_index_base_imNS_24const_host_device_scalarIfEENS7_IdEENS7_IS3_EEb
		.amdhsa_group_segment_fixed_size 8192
		.amdhsa_private_segment_fixed_size 0
		.amdhsa_kernarg_size 124
		.amdhsa_user_sgpr_count 2
		.amdhsa_user_sgpr_dispatch_ptr 0
		.amdhsa_user_sgpr_queue_ptr 0
		.amdhsa_user_sgpr_kernarg_segment_ptr 1
		.amdhsa_user_sgpr_dispatch_id 0
		.amdhsa_user_sgpr_kernarg_preload_length 0
		.amdhsa_user_sgpr_kernarg_preload_offset 0
		.amdhsa_user_sgpr_private_segment_size 0
		.amdhsa_uses_dynamic_stack 0
		.amdhsa_enable_private_segment 0
		.amdhsa_system_sgpr_workgroup_id_x 1
		.amdhsa_system_sgpr_workgroup_id_y 0
		.amdhsa_system_sgpr_workgroup_id_z 0
		.amdhsa_system_sgpr_workgroup_info 0
		.amdhsa_system_vgpr_workitem_id 0
		.amdhsa_next_free_vgpr 30
		.amdhsa_next_free_sgpr 62
		.amdhsa_accum_offset 32
		.amdhsa_reserve_vcc 1
		.amdhsa_float_round_mode_32 0
		.amdhsa_float_round_mode_16_64 0
		.amdhsa_float_denorm_mode_32 3
		.amdhsa_float_denorm_mode_16_64 3
		.amdhsa_dx10_clamp 1
		.amdhsa_ieee_mode 1
		.amdhsa_fp16_overflow 0
		.amdhsa_tg_split 0
		.amdhsa_exception_fp_ieee_invalid_op 0
		.amdhsa_exception_fp_denorm_src 0
		.amdhsa_exception_fp_ieee_div_zero 0
		.amdhsa_exception_fp_ieee_overflow 0
		.amdhsa_exception_fp_ieee_underflow 0
		.amdhsa_exception_fp_ieee_inexact 0
		.amdhsa_exception_int_div_zero 0
	.end_amdhsa_kernel
	.section	.text._ZN9rocsparseL12csrilu0_hashILj256ELj64ELj4EdEEviPKiS2_PT2_S2_PiS2_S5_S5_d21rocsparse_index_base_imNS_24const_host_device_scalarIfEENS7_IdEENS7_IS3_EEb,"axG",@progbits,_ZN9rocsparseL12csrilu0_hashILj256ELj64ELj4EdEEviPKiS2_PT2_S2_PiS2_S5_S5_d21rocsparse_index_base_imNS_24const_host_device_scalarIfEENS7_IdEENS7_IS3_EEb,comdat
.Lfunc_end22:
	.size	_ZN9rocsparseL12csrilu0_hashILj256ELj64ELj4EdEEviPKiS2_PT2_S2_PiS2_S5_S5_d21rocsparse_index_base_imNS_24const_host_device_scalarIfEENS7_IdEENS7_IS3_EEb, .Lfunc_end22-_ZN9rocsparseL12csrilu0_hashILj256ELj64ELj4EdEEviPKiS2_PT2_S2_PiS2_S5_S5_d21rocsparse_index_base_imNS_24const_host_device_scalarIfEENS7_IdEENS7_IS3_EEb
                                        ; -- End function
	.set _ZN9rocsparseL12csrilu0_hashILj256ELj64ELj4EdEEviPKiS2_PT2_S2_PiS2_S5_S5_d21rocsparse_index_base_imNS_24const_host_device_scalarIfEENS7_IdEENS7_IS3_EEb.num_vgpr, 30
	.set _ZN9rocsparseL12csrilu0_hashILj256ELj64ELj4EdEEviPKiS2_PT2_S2_PiS2_S5_S5_d21rocsparse_index_base_imNS_24const_host_device_scalarIfEENS7_IdEENS7_IS3_EEb.num_agpr, 0
	.set _ZN9rocsparseL12csrilu0_hashILj256ELj64ELj4EdEEviPKiS2_PT2_S2_PiS2_S5_S5_d21rocsparse_index_base_imNS_24const_host_device_scalarIfEENS7_IdEENS7_IS3_EEb.numbered_sgpr, 62
	.set _ZN9rocsparseL12csrilu0_hashILj256ELj64ELj4EdEEviPKiS2_PT2_S2_PiS2_S5_S5_d21rocsparse_index_base_imNS_24const_host_device_scalarIfEENS7_IdEENS7_IS3_EEb.num_named_barrier, 0
	.set _ZN9rocsparseL12csrilu0_hashILj256ELj64ELj4EdEEviPKiS2_PT2_S2_PiS2_S5_S5_d21rocsparse_index_base_imNS_24const_host_device_scalarIfEENS7_IdEENS7_IS3_EEb.private_seg_size, 0
	.set _ZN9rocsparseL12csrilu0_hashILj256ELj64ELj4EdEEviPKiS2_PT2_S2_PiS2_S5_S5_d21rocsparse_index_base_imNS_24const_host_device_scalarIfEENS7_IdEENS7_IS3_EEb.uses_vcc, 1
	.set _ZN9rocsparseL12csrilu0_hashILj256ELj64ELj4EdEEviPKiS2_PT2_S2_PiS2_S5_S5_d21rocsparse_index_base_imNS_24const_host_device_scalarIfEENS7_IdEENS7_IS3_EEb.uses_flat_scratch, 0
	.set _ZN9rocsparseL12csrilu0_hashILj256ELj64ELj4EdEEviPKiS2_PT2_S2_PiS2_S5_S5_d21rocsparse_index_base_imNS_24const_host_device_scalarIfEENS7_IdEENS7_IS3_EEb.has_dyn_sized_stack, 0
	.set _ZN9rocsparseL12csrilu0_hashILj256ELj64ELj4EdEEviPKiS2_PT2_S2_PiS2_S5_S5_d21rocsparse_index_base_imNS_24const_host_device_scalarIfEENS7_IdEENS7_IS3_EEb.has_recursion, 0
	.set _ZN9rocsparseL12csrilu0_hashILj256ELj64ELj4EdEEviPKiS2_PT2_S2_PiS2_S5_S5_d21rocsparse_index_base_imNS_24const_host_device_scalarIfEENS7_IdEENS7_IS3_EEb.has_indirect_call, 0
	.section	.AMDGPU.csdata,"",@progbits
; Kernel info:
; codeLenInByte = 2464
; TotalNumSgprs: 68
; NumVgprs: 30
; NumAgprs: 0
; TotalNumVgprs: 30
; ScratchSize: 0
; MemoryBound: 0
; FloatMode: 240
; IeeeMode: 1
; LDSByteSize: 8192 bytes/workgroup (compile time only)
; SGPRBlocks: 8
; VGPRBlocks: 3
; NumSGPRsForWavesPerEU: 68
; NumVGPRsForWavesPerEU: 30
; AccumOffset: 32
; Occupancy: 8
; WaveLimiterHint : 1
; COMPUTE_PGM_RSRC2:SCRATCH_EN: 0
; COMPUTE_PGM_RSRC2:USER_SGPR: 2
; COMPUTE_PGM_RSRC2:TRAP_HANDLER: 0
; COMPUTE_PGM_RSRC2:TGID_X_EN: 1
; COMPUTE_PGM_RSRC2:TGID_Y_EN: 0
; COMPUTE_PGM_RSRC2:TGID_Z_EN: 0
; COMPUTE_PGM_RSRC2:TIDIG_COMP_CNT: 0
; COMPUTE_PGM_RSRC3_GFX90A:ACCUM_OFFSET: 7
; COMPUTE_PGM_RSRC3_GFX90A:TG_SPLIT: 0
	.section	.text._ZN9rocsparseL12csrilu0_hashILj256ELj64ELj8EdEEviPKiS2_PT2_S2_PiS2_S5_S5_d21rocsparse_index_base_imNS_24const_host_device_scalarIfEENS7_IdEENS7_IS3_EEb,"axG",@progbits,_ZN9rocsparseL12csrilu0_hashILj256ELj64ELj8EdEEviPKiS2_PT2_S2_PiS2_S5_S5_d21rocsparse_index_base_imNS_24const_host_device_scalarIfEENS7_IdEENS7_IS3_EEb,comdat
	.globl	_ZN9rocsparseL12csrilu0_hashILj256ELj64ELj8EdEEviPKiS2_PT2_S2_PiS2_S5_S5_d21rocsparse_index_base_imNS_24const_host_device_scalarIfEENS7_IdEENS7_IS3_EEb ; -- Begin function _ZN9rocsparseL12csrilu0_hashILj256ELj64ELj8EdEEviPKiS2_PT2_S2_PiS2_S5_S5_d21rocsparse_index_base_imNS_24const_host_device_scalarIfEENS7_IdEENS7_IS3_EEb
	.p2align	8
	.type	_ZN9rocsparseL12csrilu0_hashILj256ELj64ELj8EdEEviPKiS2_PT2_S2_PiS2_S5_S5_d21rocsparse_index_base_imNS_24const_host_device_scalarIfEENS7_IdEENS7_IS3_EEb,@function
_ZN9rocsparseL12csrilu0_hashILj256ELj64ELj8EdEEviPKiS2_PT2_S2_PiS2_S5_S5_d21rocsparse_index_base_imNS_24const_host_device_scalarIfEENS7_IdEENS7_IS3_EEb: ; @_ZN9rocsparseL12csrilu0_hashILj256ELj64ELj8EdEEviPKiS2_PT2_S2_PiS2_S5_S5_d21rocsparse_index_base_imNS_24const_host_device_scalarIfEENS7_IdEENS7_IS3_EEb
; %bb.0:
	s_load_dword s3, s[0:1], 0x78
	s_load_dwordx2 s[28:29], s[0:1], 0x50
	s_load_dwordx8 s[20:27], s[0:1], 0x58
	s_waitcnt lgkmcnt(0)
	s_bitcmp1_b32 s3, 0
	s_cselect_b64 s[4:5], -1, 0
	s_cmp_eq_u32 s29, 0
	s_cselect_b64 s[6:7], -1, 0
	s_cmp_lg_u32 s29, 0
	s_cselect_b64 s[30:31], -1, 0
	s_or_b64 s[4:5], s[6:7], s[4:5]
	s_xor_b64 s[8:9], s[4:5], -1
	s_and_b64 s[10:11], s[6:7], exec
	s_cselect_b32 s11, 0, s25
	s_cselect_b32 s10, 0, s24
	s_and_b64 vcc, exec, s[4:5]
	s_cbranch_vccnz .LBB23_2
; %bb.1:
	s_load_dword s3, s[22:23], 0x0
	s_mov_b64 s[10:11], s[24:25]
	s_waitcnt lgkmcnt(0)
	v_mov_b32_e32 v17, s3
	s_branch .LBB23_3
.LBB23_2:
	v_mov_b32_e32 v1, s22
	v_cndmask_b32_e64 v17, v1, 0, s[6:7]
.LBB23_3:
	v_cndmask_b32_e64 v1, 0, 1, s[8:9]
	v_cmp_ne_u32_e64 s[4:5], 1, v1
	s_andn2_b64 vcc, exec, s[8:9]
	v_mov_b64_e32 v[2:3], s[10:11]
	s_cbranch_vccnz .LBB23_5
; %bb.4:
	v_mov_b64_e32 v[2:3], s[24:25]
	flat_load_dwordx2 v[2:3], v[2:3]
.LBB23_5:
	s_and_b64 s[6:7], s[6:7], exec
	s_cselect_b32 s7, 0, s27
	s_cselect_b32 s6, 0, s26
	s_and_b64 vcc, exec, s[4:5]
	v_mov_b64_e32 v[22:23], s[6:7]
	s_cbranch_vccnz .LBB23_7
; %bb.6:
	v_mov_b64_e32 v[4:5], s[26:27]
	flat_load_dwordx2 v[22:23], v[4:5]
.LBB23_7:
	s_load_dword s3, s[0:1], 0x0
	v_lshlrev_b32_e32 v1, 3, v0
	s_lshl_b32 s2, s2, 2
	v_and_b32_e32 v16, 63, v0
	v_and_b32_e32 v6, 0x600, v1
	v_mov_b32_e32 v1, 0x2000
	v_lshrrev_b32_e32 v0, 6, v0
	s_and_b32 s2, s2, 0x3fffffc
	v_lshl_or_b32 v5, v6, 2, v1
	v_or_b32_e32 v0, s2, v0
	v_lshl_or_b32 v1, v16, 2, v5
	v_mov_b32_e32 v4, -1
	s_waitcnt lgkmcnt(0)
	v_cmp_gt_i32_e32 vcc, s3, v0
	ds_write2st64_b32 v1, v4, v4 offset1:1
	ds_write2st64_b32 v1, v4, v4 offset0:2 offset1:3
	ds_write2st64_b32 v1, v4, v4 offset0:4 offset1:5
	;; [unrolled: 1-line block ×3, first 2 shown]
	s_waitcnt lgkmcnt(0)
	s_and_saveexec_b64 s[2:3], vcc
	s_cbranch_execz .LBB23_79
; %bb.8:
	s_load_dwordx16 s[4:19], s[0:1], 0x8
	v_lshlrev_b32_e32 v0, 2, v0
	v_lshlrev_b32_e32 v18, 2, v6
	s_waitcnt lgkmcnt(0)
	global_load_dword v0, v0, s[14:15]
	s_waitcnt vmcnt(0)
	v_ashrrev_i32_e32 v1, 31, v0
	v_lshlrev_b64 v[8:9], 2, v[0:1]
	v_lshl_add_u64 v[10:11], s[4:5], 0, v[8:9]
	global_load_dwordx2 v[10:11], v[10:11], off
	v_lshl_add_u64 v[8:9], s[10:11], 0, v[8:9]
	global_load_dword v4, v[8:9], off
	s_waitcnt vmcnt(1)
	v_subrev_u32_e32 v6, s28, v10
	v_subrev_u32_e32 v7, s28, v11
	v_add_u32_e32 v8, v6, v16
	v_cmp_lt_i32_e32 vcc, v8, v7
	s_and_saveexec_b64 s[2:3], vcc
	s_cbranch_execz .LBB23_31
; %bb.9:
	s_mov_b64 s[14:15], 0
	s_movk_i32 s29, 0x67
	v_mov_b32_e32 v10, -1
	s_branch .LBB23_11
.LBB23_10:                              ;   in Loop: Header=BB23_11 Depth=1
	s_or_b64 exec, exec, s[22:23]
	v_add_u32_e32 v8, 64, v8
	v_cmp_ge_i32_e32 vcc, v8, v7
	s_or_b64 s[14:15], vcc, s[14:15]
	s_andn2_b64 exec, exec, s[14:15]
	s_cbranch_execz .LBB23_31
.LBB23_11:                              ; =>This Loop Header: Depth=1
                                        ;     Child Loop BB23_20 Depth 2
	v_ashrrev_i32_e32 v9, 31, v8
	v_lshl_add_u64 v[12:13], v[8:9], 2, s[6:7]
	global_load_dword v9, v[12:13], off
	v_mov_b32_e32 v11, 0x200
	s_mov_b64 s[24:25], 0
                                        ; implicit-def: $sgpr22_sgpr23
                                        ; implicit-def: $sgpr26_sgpr27
                                        ; implicit-def: $sgpr34_sgpr35
	s_waitcnt vmcnt(0)
	v_mul_lo_u32 v13, v9, s29
	s_branch .LBB23_20
.LBB23_12:                              ;   in Loop: Header=BB23_20 Depth=2
	s_or_b64 exec, exec, s[54:55]
	s_orn2_b64 s[50:51], s[50:51], exec
	s_orn2_b64 s[52:53], s[52:53], exec
.LBB23_13:                              ;   in Loop: Header=BB23_20 Depth=2
	s_or_b64 exec, exec, s[48:49]
	s_and_b64 s[50:51], s[50:51], exec
	s_orn2_b64 s[48:49], s[52:53], exec
.LBB23_14:                              ;   in Loop: Header=BB23_20 Depth=2
	s_or_b64 exec, exec, s[46:47]
	s_orn2_b64 s[50:51], s[50:51], exec
	s_orn2_b64 s[46:47], s[48:49], exec
.LBB23_15:                              ;   in Loop: Header=BB23_20 Depth=2
	s_or_b64 exec, exec, s[44:45]
	s_and_b64 s[48:49], s[50:51], exec
	s_orn2_b64 s[44:45], s[46:47], exec
.LBB23_16:                              ;   in Loop: Header=BB23_20 Depth=2
	s_or_b64 exec, exec, s[42:43]
	s_orn2_b64 s[42:43], s[48:49], exec
	s_orn2_b64 s[44:45], s[44:45], exec
.LBB23_17:                              ;   in Loop: Header=BB23_20 Depth=2
	s_or_b64 exec, exec, s[40:41]
	s_and_b64 s[42:43], s[42:43], exec
	s_orn2_b64 s[40:41], s[44:45], exec
.LBB23_18:                              ;   in Loop: Header=BB23_20 Depth=2
	s_or_b64 exec, exec, s[38:39]
	s_andn2_b64 s[34:35], s[34:35], exec
	s_and_b64 s[38:39], s[42:43], exec
	s_or_b64 s[34:35], s[34:35], s[38:39]
	s_andn2_b64 s[26:27], s[26:27], exec
	s_and_b64 s[38:39], s[40:41], exec
	s_or_b64 s[26:27], s[26:27], s[38:39]
.LBB23_19:                              ;   in Loop: Header=BB23_20 Depth=2
	s_or_b64 exec, exec, s[36:37]
	s_and_b64 s[36:37], exec, s[26:27]
	s_or_b64 s[24:25], s[36:37], s[24:25]
	s_andn2_b64 s[22:23], s[22:23], exec
	s_and_b64 s[36:37], s[34:35], exec
	s_or_b64 s[22:23], s[22:23], s[36:37]
	s_andn2_b64 exec, exec, s[24:25]
	s_cbranch_execz .LBB23_29
.LBB23_20:                              ;   Parent Loop BB23_11 Depth=1
                                        ; =>  This Inner Loop Header: Depth=2
	v_and_b32_e32 v12, 0x1ff, v13
	v_lshl_add_u32 v14, v12, 2, v5
	ds_read_b32 v15, v14
	s_or_b64 s[34:35], s[34:35], exec
	s_or_b64 s[26:27], s[26:27], exec
	s_waitcnt lgkmcnt(0)
	v_cmp_ne_u32_e32 vcc, v15, v9
	s_and_saveexec_b64 s[36:37], vcc
	s_cbranch_execz .LBB23_19
; %bb.21:                               ;   in Loop: Header=BB23_20 Depth=2
	ds_cmpst_rtn_b32 v14, v14, v10, v9
	s_mov_b64 s[40:41], -1
	s_mov_b64 s[42:43], 0
	s_waitcnt lgkmcnt(0)
	v_cmp_ne_u32_e32 vcc, -1, v14
	s_and_saveexec_b64 s[38:39], vcc
	s_cbranch_execz .LBB23_18
; %bb.22:                               ;   in Loop: Header=BB23_20 Depth=2
	v_add_u32_e32 v12, 1, v13
	v_and_b32_e32 v12, 0x1ff, v12
	v_lshl_add_u32 v14, v12, 2, v5
	ds_read_b32 v15, v14
	s_mov_b64 s[44:45], -1
	s_mov_b64 s[42:43], -1
	s_waitcnt lgkmcnt(0)
	v_cmp_ne_u32_e32 vcc, v15, v9
	s_and_saveexec_b64 s[40:41], vcc
	s_cbranch_execz .LBB23_17
; %bb.23:                               ;   in Loop: Header=BB23_20 Depth=2
	ds_cmpst_rtn_b32 v14, v14, v10, v9
	s_mov_b64 s[48:49], 0
	s_waitcnt lgkmcnt(0)
	v_cmp_ne_u32_e32 vcc, -1, v14
	s_and_saveexec_b64 s[42:43], vcc
	s_cbranch_execz .LBB23_16
; %bb.24:                               ;   in Loop: Header=BB23_20 Depth=2
	v_add_u32_e32 v12, 2, v13
	v_and_b32_e32 v12, 0x1ff, v12
	v_lshl_add_u32 v14, v12, 2, v5
	ds_read_b32 v15, v14
	s_mov_b64 s[46:47], -1
	s_mov_b64 s[50:51], -1
	s_waitcnt lgkmcnt(0)
	v_cmp_ne_u32_e32 vcc, v15, v9
	s_and_saveexec_b64 s[44:45], vcc
	s_cbranch_execz .LBB23_15
; %bb.25:                               ;   in Loop: Header=BB23_20 Depth=2
	ds_cmpst_rtn_b32 v14, v14, v10, v9
	s_mov_b64 s[48:49], -1
	s_mov_b64 s[50:51], 0
	s_waitcnt lgkmcnt(0)
	v_cmp_ne_u32_e32 vcc, -1, v14
	s_and_saveexec_b64 s[46:47], vcc
	s_cbranch_execz .LBB23_14
; %bb.26:                               ;   in Loop: Header=BB23_20 Depth=2
	v_add_u32_e32 v12, 3, v13
	v_and_b32_e32 v12, 0x1ff, v12
	v_lshl_add_u32 v14, v12, 2, v5
	ds_read_b32 v13, v14
	s_mov_b64 s[52:53], -1
	s_mov_b64 s[50:51], -1
	s_waitcnt lgkmcnt(0)
	v_cmp_ne_u32_e32 vcc, v13, v9
                                        ; implicit-def: $vgpr13
	s_and_saveexec_b64 s[48:49], vcc
	s_cbranch_execz .LBB23_13
; %bb.27:                               ;   in Loop: Header=BB23_20 Depth=2
	ds_cmpst_rtn_b32 v13, v14, v10, v9
	s_mov_b64 s[50:51], 0
	s_waitcnt lgkmcnt(0)
	v_cmp_ne_u32_e32 vcc, -1, v13
                                        ; implicit-def: $vgpr13
	s_and_saveexec_b64 s[54:55], vcc
	s_cbranch_execz .LBB23_12
; %bb.28:                               ;   in Loop: Header=BB23_20 Depth=2
	v_add_u32_e32 v11, -4, v11
	v_cmp_eq_u32_e32 vcc, 0, v11
	s_mov_b64 s[50:51], exec
	v_add_u32_e32 v13, 1, v12
	s_orn2_b64 s[52:53], vcc, exec
	s_branch .LBB23_12
.LBB23_29:                              ;   in Loop: Header=BB23_11 Depth=1
	s_or_b64 exec, exec, s[24:25]
	s_xor_b64 s[22:23], s[22:23], -1
	s_and_saveexec_b64 s[24:25], s[22:23]
	s_xor_b64 s[22:23], exec, s[24:25]
	s_cbranch_execz .LBB23_10
; %bb.30:                               ;   in Loop: Header=BB23_11 Depth=1
	v_lshl_add_u32 v9, v12, 2, v18
	ds_write_b32 v9, v8
	s_branch .LBB23_10
.LBB23_31:
	s_or_b64 exec, exec, s[2:3]
	s_waitcnt vmcnt(0)
	v_cmp_lt_i32_e32 vcc, v6, v4
	s_waitcnt lgkmcnt(0)
	s_and_saveexec_b64 s[2:3], vcc
	s_cbranch_execz .LBB23_61
; %bb.32:
	v_add_u32_e32 v19, 1, v16
	s_mov_b64 s[14:15], 0
	s_movk_i32 s29, 0x67
	s_branch .LBB23_35
.LBB23_33:                              ;   in Loop: Header=BB23_35 Depth=1
	s_or_b64 exec, exec, s[24:25]
	v_add_u32_e32 v6, 1, v6
	v_cmp_ge_i32_e32 vcc, v6, v4
	s_orn2_b64 s[24:25], vcc, exec
.LBB23_34:                              ;   in Loop: Header=BB23_35 Depth=1
	s_or_b64 exec, exec, s[22:23]
	s_and_b64 s[22:23], exec, s[24:25]
	s_or_b64 s[14:15], s[22:23], s[14:15]
	s_andn2_b64 exec, exec, s[14:15]
	s_cbranch_execz .LBB23_61
.LBB23_35:                              ; =>This Loop Header: Depth=1
                                        ;     Child Loop BB23_36 Depth 2
                                        ;     Child Loop BB23_41 Depth 2
                                        ;       Child Loop BB23_50 Depth 3
	v_ashrrev_i32_e32 v7, 31, v6
	v_lshl_add_u64 v[8:9], v[6:7], 2, s[6:7]
	global_load_dword v12, v[8:9], off
	v_lshl_add_u64 v[10:11], v[6:7], 3, s[8:9]
	global_load_dwordx2 v[8:9], v[10:11], off
	s_mov_b64 s[22:23], 0
	s_waitcnt vmcnt(1)
	v_subrev_u32_e32 v12, s28, v12
	v_ashrrev_i32_e32 v13, 31, v12
	v_lshlrev_b64 v[12:13], 2, v[12:13]
	v_lshl_add_u64 v[20:21], s[4:5], 0, v[12:13]
	v_lshl_add_u64 v[24:25], s[10:11], 0, v[12:13]
	global_load_dword v7, v[20:21], off offset:4
	global_load_dword v14, v[24:25], off
	v_lshl_add_u64 v[12:13], s[12:13], 0, v[12:13]
.LBB23_36:                              ;   Parent Loop BB23_35 Depth=1
                                        ; =>  This Inner Loop Header: Depth=2
	global_load_dword v15, v[12:13], off sc1
	s_waitcnt vmcnt(0)
	v_cmp_ne_u32_e32 vcc, 0, v15
	s_or_b64 s[22:23], vcc, s[22:23]
	s_andn2_b64 exec, exec, s[22:23]
	s_cbranch_execnz .LBB23_36
; %bb.37:                               ;   in Loop: Header=BB23_35 Depth=1
	s_or_b64 exec, exec, s[22:23]
	v_subrev_u32_e32 v7, s28, v7
	v_add_u32_e32 v12, -1, v7
	v_cmp_eq_u32_e32 vcc, -1, v14
	buffer_inv sc1
	s_mov_b64 s[24:25], -1
	v_cndmask_b32_e32 v12, v14, v12, vcc
	v_ashrrev_i32_e32 v13, 31, v12
	v_lshl_add_u64 v[14:15], v[12:13], 3, s[8:9]
	global_load_dwordx2 v[14:15], v[14:15], off
	s_waitcnt vmcnt(0)
	v_cmp_neq_f64_e32 vcc, 0, v[14:15]
	s_and_saveexec_b64 s[22:23], vcc
	s_cbranch_execz .LBB23_34
; %bb.38:                               ;   in Loop: Header=BB23_35 Depth=1
	v_div_scale_f64 v[20:21], s[24:25], v[14:15], v[14:15], v[8:9]
	v_rcp_f64_e32 v[24:25], v[20:21]
	v_div_scale_f64 v[26:27], vcc, v[8:9], v[14:15], v[8:9]
	v_fma_f64 v[28:29], -v[20:21], v[24:25], 1.0
	v_fmac_f64_e32 v[24:25], v[24:25], v[28:29]
	v_fma_f64 v[28:29], -v[20:21], v[24:25], 1.0
	v_fmac_f64_e32 v[24:25], v[24:25], v[28:29]
	v_mul_f64 v[28:29], v[26:27], v[24:25]
	v_fma_f64 v[20:21], -v[20:21], v[28:29], v[26:27]
	v_div_fmas_f64 v[20:21], v[20:21], v[24:25], v[28:29]
	v_div_fixup_f64 v[8:9], v[20:21], v[14:15], v[8:9]
	global_store_dwordx2 v[10:11], v[8:9], off
	v_add_u32_e32 v10, v19, v12
	v_cmp_lt_i32_e32 vcc, v10, v7
	s_and_saveexec_b64 s[24:25], vcc
	s_cbranch_execz .LBB23_33
; %bb.39:                               ;   in Loop: Header=BB23_35 Depth=1
	s_mov_b64 s[26:27], 0
	s_branch .LBB23_41
.LBB23_40:                              ;   in Loop: Header=BB23_41 Depth=2
	s_or_b64 exec, exec, s[34:35]
	v_add_u32_e32 v10, 64, v10
	v_cmp_ge_i32_e32 vcc, v10, v7
	s_or_b64 s[26:27], vcc, s[26:27]
	s_andn2_b64 exec, exec, s[26:27]
	s_cbranch_execz .LBB23_33
.LBB23_41:                              ;   Parent Loop BB23_35 Depth=1
                                        ; =>  This Loop Header: Depth=2
                                        ;       Child Loop BB23_50 Depth 3
	v_ashrrev_i32_e32 v11, 31, v10
	v_lshl_add_u64 v[12:13], v[10:11], 2, s[6:7]
	global_load_dword v12, v[12:13], off
	v_mov_b32_e32 v13, 0x200
	s_mov_b64 s[36:37], 0
                                        ; implicit-def: $sgpr34_sgpr35
                                        ; implicit-def: $sgpr38_sgpr39
                                        ; implicit-def: $sgpr40_sgpr41
	s_waitcnt vmcnt(0)
	v_mul_lo_u32 v15, v12, s29
	s_branch .LBB23_50
.LBB23_42:                              ;   in Loop: Header=BB23_50 Depth=3
	s_or_b64 exec, exec, s[60:61]
	s_orn2_b64 s[56:57], s[56:57], exec
	s_orn2_b64 s[58:59], s[58:59], exec
.LBB23_43:                              ;   in Loop: Header=BB23_50 Depth=3
	s_or_b64 exec, exec, s[54:55]
	s_and_b64 s[56:57], s[56:57], exec
	s_orn2_b64 s[54:55], s[58:59], exec
.LBB23_44:                              ;   in Loop: Header=BB23_50 Depth=3
	s_or_b64 exec, exec, s[52:53]
	s_orn2_b64 s[56:57], s[56:57], exec
	s_orn2_b64 s[52:53], s[54:55], exec
.LBB23_45:                              ;   in Loop: Header=BB23_50 Depth=3
	s_or_b64 exec, exec, s[50:51]
	s_and_b64 s[54:55], s[56:57], exec
	s_orn2_b64 s[50:51], s[52:53], exec
.LBB23_46:                              ;   in Loop: Header=BB23_50 Depth=3
	s_or_b64 exec, exec, s[48:49]
	s_orn2_b64 s[48:49], s[54:55], exec
	s_orn2_b64 s[50:51], s[50:51], exec
.LBB23_47:                              ;   in Loop: Header=BB23_50 Depth=3
	s_or_b64 exec, exec, s[46:47]
	s_and_b64 s[48:49], s[48:49], exec
	s_orn2_b64 s[46:47], s[50:51], exec
.LBB23_48:                              ;   in Loop: Header=BB23_50 Depth=3
	s_or_b64 exec, exec, s[44:45]
	s_andn2_b64 s[40:41], s[40:41], exec
	s_and_b64 s[44:45], s[48:49], exec
	s_or_b64 s[40:41], s[40:41], s[44:45]
	s_andn2_b64 s[38:39], s[38:39], exec
	s_and_b64 s[44:45], s[46:47], exec
	s_or_b64 s[38:39], s[38:39], s[44:45]
.LBB23_49:                              ;   in Loop: Header=BB23_50 Depth=3
	s_or_b64 exec, exec, s[42:43]
	s_and_b64 s[42:43], exec, s[38:39]
	s_or_b64 s[36:37], s[42:43], s[36:37]
	s_andn2_b64 s[34:35], s[34:35], exec
	s_and_b64 s[42:43], s[40:41], exec
	s_or_b64 s[34:35], s[34:35], s[42:43]
	s_andn2_b64 exec, exec, s[36:37]
	s_cbranch_execz .LBB23_59
.LBB23_50:                              ;   Parent Loop BB23_35 Depth=1
                                        ;     Parent Loop BB23_41 Depth=2
                                        ; =>    This Inner Loop Header: Depth=3
	v_and_b32_e32 v14, 0x1ff, v15
	v_lshl_add_u32 v20, v14, 2, v5
	ds_read_b32 v20, v20
	s_or_b64 s[40:41], s[40:41], exec
	s_or_b64 s[38:39], s[38:39], exec
	s_waitcnt lgkmcnt(0)
	v_cmp_ne_u32_e32 vcc, -1, v20
	s_and_saveexec_b64 s[42:43], vcc
	s_cbranch_execz .LBB23_49
; %bb.51:                               ;   in Loop: Header=BB23_50 Depth=3
	v_cmp_ne_u32_e32 vcc, v20, v12
	s_mov_b64 s[46:47], -1
	s_mov_b64 s[48:49], 0
	s_and_saveexec_b64 s[44:45], vcc
	s_cbranch_execz .LBB23_48
; %bb.52:                               ;   in Loop: Header=BB23_50 Depth=3
	v_add_u32_e32 v14, 1, v15
	v_and_b32_e32 v14, 0x1ff, v14
	v_lshl_add_u32 v20, v14, 2, v5
	ds_read_b32 v20, v20
	s_mov_b64 s[50:51], -1
	s_mov_b64 s[48:49], -1
	s_waitcnt lgkmcnt(0)
	v_cmp_ne_u32_e32 vcc, -1, v20
	s_and_saveexec_b64 s[46:47], vcc
	s_cbranch_execz .LBB23_47
; %bb.53:                               ;   in Loop: Header=BB23_50 Depth=3
	v_cmp_ne_u32_e32 vcc, v20, v12
	s_mov_b64 s[54:55], 0
	s_and_saveexec_b64 s[48:49], vcc
	s_cbranch_execz .LBB23_46
; %bb.54:                               ;   in Loop: Header=BB23_50 Depth=3
	v_add_u32_e32 v14, 2, v15
	v_and_b32_e32 v14, 0x1ff, v14
	v_lshl_add_u32 v20, v14, 2, v5
	ds_read_b32 v20, v20
	s_mov_b64 s[52:53], -1
	s_mov_b64 s[56:57], -1
	s_waitcnt lgkmcnt(0)
	v_cmp_ne_u32_e32 vcc, -1, v20
	s_and_saveexec_b64 s[50:51], vcc
	s_cbranch_execz .LBB23_45
; %bb.55:                               ;   in Loop: Header=BB23_50 Depth=3
	v_cmp_ne_u32_e32 vcc, v20, v12
	s_mov_b64 s[54:55], -1
	s_mov_b64 s[56:57], 0
	s_and_saveexec_b64 s[52:53], vcc
	s_cbranch_execz .LBB23_44
; %bb.56:                               ;   in Loop: Header=BB23_50 Depth=3
	v_add_u32_e32 v14, 3, v15
	v_and_b32_e32 v14, 0x1ff, v14
	v_lshl_add_u32 v15, v14, 2, v5
	ds_read_b32 v20, v15
	s_mov_b64 s[58:59], -1
	s_mov_b64 s[56:57], -1
                                        ; implicit-def: $vgpr15
	s_waitcnt lgkmcnt(0)
	v_cmp_ne_u32_e32 vcc, -1, v20
	s_and_saveexec_b64 s[54:55], vcc
	s_cbranch_execz .LBB23_43
; %bb.57:                               ;   in Loop: Header=BB23_50 Depth=3
	v_cmp_ne_u32_e32 vcc, v20, v12
	s_mov_b64 s[56:57], 0
                                        ; implicit-def: $vgpr15
	s_and_saveexec_b64 s[60:61], vcc
	s_cbranch_execz .LBB23_42
; %bb.58:                               ;   in Loop: Header=BB23_50 Depth=3
	v_add_u32_e32 v13, -4, v13
	v_cmp_eq_u32_e32 vcc, 0, v13
	s_mov_b64 s[56:57], exec
	v_add_u32_e32 v15, 1, v14
	s_orn2_b64 s[58:59], vcc, exec
	s_branch .LBB23_42
.LBB23_59:                              ;   in Loop: Header=BB23_41 Depth=2
	s_or_b64 exec, exec, s[36:37]
	s_xor_b64 s[34:35], s[34:35], -1
	s_and_saveexec_b64 s[36:37], s[34:35]
	s_xor_b64 s[34:35], exec, s[36:37]
	s_cbranch_execz .LBB23_40
; %bb.60:                               ;   in Loop: Header=BB23_41 Depth=2
	v_lshl_add_u32 v12, v14, 2, v18
	ds_read_b32 v12, v12
	v_lshl_add_u64 v[14:15], v[10:11], 3, s[8:9]
	s_waitcnt lgkmcnt(0)
	v_ashrrev_i32_e32 v13, 31, v12
	v_lshl_add_u64 v[12:13], v[12:13], 3, s[8:9]
	global_load_dwordx2 v[20:21], v[14:15], off
	global_load_dwordx2 v[24:25], v[12:13], off
	s_waitcnt vmcnt(0)
	v_fma_f64 v[14:15], -v[8:9], v[20:21], v[24:25]
	global_store_dwordx2 v[12:13], v[14:15], off
	s_branch .LBB23_40
.LBB23_61:
	s_or_b64 exec, exec, s[2:3]
	v_cmp_lt_i32_e32 vcc, -1, v4
	s_and_saveexec_b64 s[6:7], vcc
	s_cbranch_execz .LBB23_77
; %bb.62:
	v_mov_b32_e32 v5, 0
	v_lshl_add_u64 v[8:9], v[4:5], 3, s[8:9]
	global_load_dwordx2 v[4:5], v[8:9], off
	v_cmp_eq_u32_e64 s[2:3], 0, v16
	s_andn2_b64 vcc, exec, s[30:31]
	s_waitcnt vmcnt(0)
	v_xor_b32_e32 v7, 0x80000000, v5
	v_cmp_gt_f64_e64 s[4:5], 0, v[4:5]
	v_mov_b32_e32 v6, v4
	s_nop 0
	v_cndmask_b32_e64 v7, v5, v7, s[4:5]
	s_mov_b64 s[4:5], -1
	s_cbranch_vccnz .LBB23_66
; %bb.63:
	s_cmp_eq_u64 s[20:21], 8
	v_cvt_f64_f32_e32 v[10:11], v17
	s_cselect_b64 vcc, -1, 0
	v_cndmask_b32_e32 v3, v11, v3, vcc
	v_cndmask_b32_e32 v2, v10, v2, vcc
	v_cmp_le_f64_e32 vcc, v[6:7], v[2:3]
	s_and_b64 s[8:9], s[2:3], vcc
	s_and_saveexec_b64 s[4:5], s[8:9]
	s_cbranch_execz .LBB23_65
; %bb.64:
	global_store_dwordx2 v[8:9], v[22:23], off
	buffer_wbl2 sc1
	s_waitcnt vmcnt(0)
	buffer_inv sc1
.LBB23_65:
	s_or_b64 exec, exec, s[4:5]
	s_mov_b64 s[4:5], 0
.LBB23_66:
	s_andn2_b64 vcc, exec, s[4:5]
	s_cbranch_vccnz .LBB23_77
; %bb.67:
	s_load_dwordx2 s[0:1], s[0:1], 0x48
	v_add_u32_e32 v2, s28, v0
	s_waitcnt lgkmcnt(0)
	v_cmp_ge_f64_e32 vcc, s[0:1], v[6:7]
	s_and_b64 s[4:5], s[2:3], vcc
	s_and_saveexec_b64 s[0:1], s[4:5]
	s_cbranch_execz .LBB23_72
; %bb.68:
	s_mov_b64 s[4:5], exec
	s_brev_b32 s8, -2
.LBB23_69:                              ; =>This Inner Loop Header: Depth=1
	s_ff1_i32_b64 s9, s[4:5]
	v_readlane_b32 s14, v2, s9
	s_lshl_b64 s[10:11], 1, s9
	s_min_i32 s8, s8, s14
	s_andn2_b64 s[4:5], s[4:5], s[10:11]
	s_cmp_lg_u64 s[4:5], 0
	s_cbranch_scc1 .LBB23_69
; %bb.70:
	v_mbcnt_lo_u32_b32 v3, exec_lo, 0
	v_mbcnt_hi_u32_b32 v3, exec_hi, v3
	v_cmp_eq_u32_e32 vcc, 0, v3
	s_and_saveexec_b64 s[4:5], vcc
	s_xor_b64 s[4:5], exec, s[4:5]
	s_cbranch_execz .LBB23_72
; %bb.71:
	v_mov_b32_e32 v3, 0
	v_mov_b32_e32 v6, s8
	global_atomic_smin v3, v6, s[18:19]
.LBB23_72:
	s_or_b64 exec, exec, s[0:1]
	v_cmp_eq_f64_e32 vcc, 0, v[4:5]
	s_and_b64 s[0:1], s[2:3], vcc
	s_and_b64 exec, exec, s[0:1]
	s_cbranch_execz .LBB23_77
; %bb.73:
	s_mov_b64 s[0:1], exec
	s_brev_b32 s2, -2
.LBB23_74:                              ; =>This Inner Loop Header: Depth=1
	s_ff1_i32_b64 s3, s[0:1]
	v_readlane_b32 s8, v2, s3
	s_lshl_b64 s[4:5], 1, s3
	s_min_i32 s2, s2, s8
	s_andn2_b64 s[0:1], s[0:1], s[4:5]
	s_cmp_lg_u64 s[0:1], 0
	s_cbranch_scc1 .LBB23_74
; %bb.75:
	v_mbcnt_lo_u32_b32 v2, exec_lo, 0
	v_mbcnt_hi_u32_b32 v2, exec_hi, v2
	v_cmp_eq_u32_e32 vcc, 0, v2
	s_and_saveexec_b64 s[0:1], vcc
	s_xor_b64 s[0:1], exec, s[0:1]
	s_cbranch_execz .LBB23_77
; %bb.76:
	v_mov_b32_e32 v2, 0
	v_mov_b32_e32 v3, s2
	global_atomic_smin v2, v3, s[16:17]
.LBB23_77:
	s_or_b64 exec, exec, s[6:7]
	v_cmp_eq_u32_e32 vcc, 0, v16
	buffer_wbl2 sc1
	s_waitcnt vmcnt(0)
	buffer_inv sc1
	s_and_b64 exec, exec, vcc
	s_cbranch_execz .LBB23_79
; %bb.78:
	v_lshl_add_u64 v[0:1], v[0:1], 2, s[12:13]
	v_mov_b32_e32 v2, 1
	buffer_wbl2 sc1
	global_store_dword v[0:1], v2, off sc1
.LBB23_79:
	s_endpgm
	.section	.rodata,"a",@progbits
	.p2align	6, 0x0
	.amdhsa_kernel _ZN9rocsparseL12csrilu0_hashILj256ELj64ELj8EdEEviPKiS2_PT2_S2_PiS2_S5_S5_d21rocsparse_index_base_imNS_24const_host_device_scalarIfEENS7_IdEENS7_IS3_EEb
		.amdhsa_group_segment_fixed_size 16384
		.amdhsa_private_segment_fixed_size 0
		.amdhsa_kernarg_size 124
		.amdhsa_user_sgpr_count 2
		.amdhsa_user_sgpr_dispatch_ptr 0
		.amdhsa_user_sgpr_queue_ptr 0
		.amdhsa_user_sgpr_kernarg_segment_ptr 1
		.amdhsa_user_sgpr_dispatch_id 0
		.amdhsa_user_sgpr_kernarg_preload_length 0
		.amdhsa_user_sgpr_kernarg_preload_offset 0
		.amdhsa_user_sgpr_private_segment_size 0
		.amdhsa_uses_dynamic_stack 0
		.amdhsa_enable_private_segment 0
		.amdhsa_system_sgpr_workgroup_id_x 1
		.amdhsa_system_sgpr_workgroup_id_y 0
		.amdhsa_system_sgpr_workgroup_id_z 0
		.amdhsa_system_sgpr_workgroup_info 0
		.amdhsa_system_vgpr_workitem_id 0
		.amdhsa_next_free_vgpr 30
		.amdhsa_next_free_sgpr 62
		.amdhsa_accum_offset 32
		.amdhsa_reserve_vcc 1
		.amdhsa_float_round_mode_32 0
		.amdhsa_float_round_mode_16_64 0
		.amdhsa_float_denorm_mode_32 3
		.amdhsa_float_denorm_mode_16_64 3
		.amdhsa_dx10_clamp 1
		.amdhsa_ieee_mode 1
		.amdhsa_fp16_overflow 0
		.amdhsa_tg_split 0
		.amdhsa_exception_fp_ieee_invalid_op 0
		.amdhsa_exception_fp_denorm_src 0
		.amdhsa_exception_fp_ieee_div_zero 0
		.amdhsa_exception_fp_ieee_overflow 0
		.amdhsa_exception_fp_ieee_underflow 0
		.amdhsa_exception_fp_ieee_inexact 0
		.amdhsa_exception_int_div_zero 0
	.end_amdhsa_kernel
	.section	.text._ZN9rocsparseL12csrilu0_hashILj256ELj64ELj8EdEEviPKiS2_PT2_S2_PiS2_S5_S5_d21rocsparse_index_base_imNS_24const_host_device_scalarIfEENS7_IdEENS7_IS3_EEb,"axG",@progbits,_ZN9rocsparseL12csrilu0_hashILj256ELj64ELj8EdEEviPKiS2_PT2_S2_PiS2_S5_S5_d21rocsparse_index_base_imNS_24const_host_device_scalarIfEENS7_IdEENS7_IS3_EEb,comdat
.Lfunc_end23:
	.size	_ZN9rocsparseL12csrilu0_hashILj256ELj64ELj8EdEEviPKiS2_PT2_S2_PiS2_S5_S5_d21rocsparse_index_base_imNS_24const_host_device_scalarIfEENS7_IdEENS7_IS3_EEb, .Lfunc_end23-_ZN9rocsparseL12csrilu0_hashILj256ELj64ELj8EdEEviPKiS2_PT2_S2_PiS2_S5_S5_d21rocsparse_index_base_imNS_24const_host_device_scalarIfEENS7_IdEENS7_IS3_EEb
                                        ; -- End function
	.set _ZN9rocsparseL12csrilu0_hashILj256ELj64ELj8EdEEviPKiS2_PT2_S2_PiS2_S5_S5_d21rocsparse_index_base_imNS_24const_host_device_scalarIfEENS7_IdEENS7_IS3_EEb.num_vgpr, 30
	.set _ZN9rocsparseL12csrilu0_hashILj256ELj64ELj8EdEEviPKiS2_PT2_S2_PiS2_S5_S5_d21rocsparse_index_base_imNS_24const_host_device_scalarIfEENS7_IdEENS7_IS3_EEb.num_agpr, 0
	.set _ZN9rocsparseL12csrilu0_hashILj256ELj64ELj8EdEEviPKiS2_PT2_S2_PiS2_S5_S5_d21rocsparse_index_base_imNS_24const_host_device_scalarIfEENS7_IdEENS7_IS3_EEb.numbered_sgpr, 62
	.set _ZN9rocsparseL12csrilu0_hashILj256ELj64ELj8EdEEviPKiS2_PT2_S2_PiS2_S5_S5_d21rocsparse_index_base_imNS_24const_host_device_scalarIfEENS7_IdEENS7_IS3_EEb.num_named_barrier, 0
	.set _ZN9rocsparseL12csrilu0_hashILj256ELj64ELj8EdEEviPKiS2_PT2_S2_PiS2_S5_S5_d21rocsparse_index_base_imNS_24const_host_device_scalarIfEENS7_IdEENS7_IS3_EEb.private_seg_size, 0
	.set _ZN9rocsparseL12csrilu0_hashILj256ELj64ELj8EdEEviPKiS2_PT2_S2_PiS2_S5_S5_d21rocsparse_index_base_imNS_24const_host_device_scalarIfEENS7_IdEENS7_IS3_EEb.uses_vcc, 1
	.set _ZN9rocsparseL12csrilu0_hashILj256ELj64ELj8EdEEviPKiS2_PT2_S2_PiS2_S5_S5_d21rocsparse_index_base_imNS_24const_host_device_scalarIfEENS7_IdEENS7_IS3_EEb.uses_flat_scratch, 0
	.set _ZN9rocsparseL12csrilu0_hashILj256ELj64ELj8EdEEviPKiS2_PT2_S2_PiS2_S5_S5_d21rocsparse_index_base_imNS_24const_host_device_scalarIfEENS7_IdEENS7_IS3_EEb.has_dyn_sized_stack, 0
	.set _ZN9rocsparseL12csrilu0_hashILj256ELj64ELj8EdEEviPKiS2_PT2_S2_PiS2_S5_S5_d21rocsparse_index_base_imNS_24const_host_device_scalarIfEENS7_IdEENS7_IS3_EEb.has_recursion, 0
	.set _ZN9rocsparseL12csrilu0_hashILj256ELj64ELj8EdEEviPKiS2_PT2_S2_PiS2_S5_S5_d21rocsparse_index_base_imNS_24const_host_device_scalarIfEENS7_IdEENS7_IS3_EEb.has_indirect_call, 0
	.section	.AMDGPU.csdata,"",@progbits
; Kernel info:
; codeLenInByte = 2480
; TotalNumSgprs: 68
; NumVgprs: 30
; NumAgprs: 0
; TotalNumVgprs: 30
; ScratchSize: 0
; MemoryBound: 0
; FloatMode: 240
; IeeeMode: 1
; LDSByteSize: 16384 bytes/workgroup (compile time only)
; SGPRBlocks: 8
; VGPRBlocks: 3
; NumSGPRsForWavesPerEU: 68
; NumVGPRsForWavesPerEU: 30
; AccumOffset: 32
; Occupancy: 8
; WaveLimiterHint : 1
; COMPUTE_PGM_RSRC2:SCRATCH_EN: 0
; COMPUTE_PGM_RSRC2:USER_SGPR: 2
; COMPUTE_PGM_RSRC2:TRAP_HANDLER: 0
; COMPUTE_PGM_RSRC2:TGID_X_EN: 1
; COMPUTE_PGM_RSRC2:TGID_Y_EN: 0
; COMPUTE_PGM_RSRC2:TGID_Z_EN: 0
; COMPUTE_PGM_RSRC2:TIDIG_COMP_CNT: 0
; COMPUTE_PGM_RSRC3_GFX90A:ACCUM_OFFSET: 7
; COMPUTE_PGM_RSRC3_GFX90A:TG_SPLIT: 0
	.section	.text._ZN9rocsparseL12csrilu0_hashILj256ELj64ELj16EdEEviPKiS2_PT2_S2_PiS2_S5_S5_d21rocsparse_index_base_imNS_24const_host_device_scalarIfEENS7_IdEENS7_IS3_EEb,"axG",@progbits,_ZN9rocsparseL12csrilu0_hashILj256ELj64ELj16EdEEviPKiS2_PT2_S2_PiS2_S5_S5_d21rocsparse_index_base_imNS_24const_host_device_scalarIfEENS7_IdEENS7_IS3_EEb,comdat
	.globl	_ZN9rocsparseL12csrilu0_hashILj256ELj64ELj16EdEEviPKiS2_PT2_S2_PiS2_S5_S5_d21rocsparse_index_base_imNS_24const_host_device_scalarIfEENS7_IdEENS7_IS3_EEb ; -- Begin function _ZN9rocsparseL12csrilu0_hashILj256ELj64ELj16EdEEviPKiS2_PT2_S2_PiS2_S5_S5_d21rocsparse_index_base_imNS_24const_host_device_scalarIfEENS7_IdEENS7_IS3_EEb
	.p2align	8
	.type	_ZN9rocsparseL12csrilu0_hashILj256ELj64ELj16EdEEviPKiS2_PT2_S2_PiS2_S5_S5_d21rocsparse_index_base_imNS_24const_host_device_scalarIfEENS7_IdEENS7_IS3_EEb,@function
_ZN9rocsparseL12csrilu0_hashILj256ELj64ELj16EdEEviPKiS2_PT2_S2_PiS2_S5_S5_d21rocsparse_index_base_imNS_24const_host_device_scalarIfEENS7_IdEENS7_IS3_EEb: ; @_ZN9rocsparseL12csrilu0_hashILj256ELj64ELj16EdEEviPKiS2_PT2_S2_PiS2_S5_S5_d21rocsparse_index_base_imNS_24const_host_device_scalarIfEENS7_IdEENS7_IS3_EEb
; %bb.0:
	s_load_dword s3, s[0:1], 0x78
	s_load_dwordx2 s[28:29], s[0:1], 0x50
	s_load_dwordx8 s[20:27], s[0:1], 0x58
	s_waitcnt lgkmcnt(0)
	s_bitcmp1_b32 s3, 0
	s_cselect_b64 s[4:5], -1, 0
	s_cmp_eq_u32 s29, 0
	s_cselect_b64 s[6:7], -1, 0
	s_cmp_lg_u32 s29, 0
	s_cselect_b64 s[30:31], -1, 0
	s_or_b64 s[4:5], s[6:7], s[4:5]
	s_xor_b64 s[8:9], s[4:5], -1
	s_and_b64 s[10:11], s[6:7], exec
	s_cselect_b32 s11, 0, s25
	s_cselect_b32 s10, 0, s24
	s_and_b64 vcc, exec, s[4:5]
	s_cbranch_vccnz .LBB24_2
; %bb.1:
	s_load_dword s3, s[22:23], 0x0
	s_mov_b64 s[10:11], s[24:25]
	s_waitcnt lgkmcnt(0)
	v_mov_b32_e32 v17, s3
	s_branch .LBB24_3
.LBB24_2:
	v_mov_b32_e32 v1, s22
	v_cndmask_b32_e64 v17, v1, 0, s[6:7]
.LBB24_3:
	v_cndmask_b32_e64 v1, 0, 1, s[8:9]
	v_cmp_ne_u32_e64 s[4:5], 1, v1
	s_andn2_b64 vcc, exec, s[8:9]
	v_mov_b64_e32 v[4:5], s[10:11]
	s_cbranch_vccnz .LBB24_5
; %bb.4:
	v_mov_b64_e32 v[2:3], s[24:25]
	flat_load_dwordx2 v[4:5], v[2:3]
.LBB24_5:
	s_and_b64 s[6:7], s[6:7], exec
	s_cselect_b32 s7, 0, s27
	s_cselect_b32 s6, 0, s26
	s_and_b64 vcc, exec, s[4:5]
	v_mov_b64_e32 v[22:23], s[6:7]
	s_cbranch_vccnz .LBB24_7
; %bb.6:
	v_mov_b64_e32 v[2:3], s[26:27]
	flat_load_dwordx2 v[22:23], v[2:3]
.LBB24_7:
	v_and_b32_e32 v16, 63, v0
	v_lshrrev_b32_e32 v1, 6, v0
	v_lshlrev_b32_e32 v3, 12, v1
	v_lshlrev_b32_e32 v6, 2, v16
	s_movk_i32 s3, 0x4000
	v_or_b32_e32 v2, 0xffffffc0, v16
	v_or3_b32 v3, v3, v6, s3
	s_mov_b64 s[4:5], 0
	v_mov_b32_e32 v6, -1
	s_movk_i32 s3, 0x3bf
.LBB24_8:                               ; =>This Inner Loop Header: Depth=1
	v_add_u32_e32 v2, 64, v2
	v_cmp_lt_u32_e32 vcc, s3, v2
	ds_write_b32 v3, v6
	s_or_b64 s[4:5], vcc, s[4:5]
	v_add_u32_e32 v3, 0x100, v3
	s_andn2_b64 exec, exec, s[4:5]
	s_cbranch_execnz .LBB24_8
; %bb.9:
	s_or_b64 exec, exec, s[4:5]
	s_load_dword s3, s[0:1], 0x0
	s_lshl_b32 s2, s2, 2
	s_and_b32 s2, s2, 0x3fffffc
	v_or_b32_e32 v1, s2, v1
	s_waitcnt lgkmcnt(0)
	v_cmp_gt_i32_e32 vcc, s3, v1
	s_and_saveexec_b64 s[2:3], vcc
	s_cbranch_execz .LBB24_81
; %bb.10:
	s_load_dwordx16 s[4:19], s[0:1], 0x8
	v_lshlrev_b32_e32 v1, 2, v1
	v_lshlrev_b32_e32 v0, 6, v0
	s_waitcnt lgkmcnt(0)
	global_load_dword v2, v1, s[14:15]
	s_waitcnt vmcnt(0)
	v_ashrrev_i32_e32 v3, 31, v2
	v_lshlrev_b64 v[6:7], 2, v[2:3]
	v_lshl_add_u64 v[8:9], s[4:5], 0, v[6:7]
	global_load_dwordx2 v[8:9], v[8:9], off
	v_lshl_add_u64 v[6:7], s[10:11], 0, v[6:7]
	global_load_dword v6, v[6:7], off
	v_and_b32_e32 v7, 0x3000, v0
	v_or_b32_e32 v18, 0x4000, v7
	s_waitcnt vmcnt(1)
	v_subrev_u32_e32 v0, s28, v8
	v_subrev_u32_e32 v1, s28, v9
	v_add_u32_e32 v8, v0, v16
	v_cmp_lt_i32_e32 vcc, v8, v1
	s_and_saveexec_b64 s[2:3], vcc
	s_cbranch_execz .LBB24_33
; %bb.11:
	s_mov_b64 s[14:15], 0
	s_movk_i32 s29, 0x67
	v_mov_b32_e32 v10, -1
	s_branch .LBB24_13
.LBB24_12:                              ;   in Loop: Header=BB24_13 Depth=1
	s_or_b64 exec, exec, s[22:23]
	v_add_u32_e32 v8, 64, v8
	v_cmp_ge_i32_e32 vcc, v8, v1
	s_or_b64 s[14:15], vcc, s[14:15]
	s_andn2_b64 exec, exec, s[14:15]
	s_cbranch_execz .LBB24_33
.LBB24_13:                              ; =>This Loop Header: Depth=1
                                        ;     Child Loop BB24_22 Depth 2
	v_ashrrev_i32_e32 v9, 31, v8
	v_lshl_add_u64 v[12:13], v[8:9], 2, s[6:7]
	global_load_dword v9, v[12:13], off
	v_mov_b32_e32 v11, 0x400
	s_mov_b64 s[24:25], 0
                                        ; implicit-def: $sgpr22_sgpr23
                                        ; implicit-def: $sgpr26_sgpr27
                                        ; implicit-def: $sgpr34_sgpr35
	s_waitcnt vmcnt(0)
	v_mul_lo_u32 v13, v9, s29
	s_branch .LBB24_22
.LBB24_14:                              ;   in Loop: Header=BB24_22 Depth=2
	s_or_b64 exec, exec, s[54:55]
	s_orn2_b64 s[50:51], s[50:51], exec
	s_orn2_b64 s[52:53], s[52:53], exec
.LBB24_15:                              ;   in Loop: Header=BB24_22 Depth=2
	s_or_b64 exec, exec, s[48:49]
	s_and_b64 s[50:51], s[50:51], exec
	s_orn2_b64 s[48:49], s[52:53], exec
.LBB24_16:                              ;   in Loop: Header=BB24_22 Depth=2
	s_or_b64 exec, exec, s[46:47]
	s_orn2_b64 s[50:51], s[50:51], exec
	s_orn2_b64 s[46:47], s[48:49], exec
.LBB24_17:                              ;   in Loop: Header=BB24_22 Depth=2
	s_or_b64 exec, exec, s[44:45]
	s_and_b64 s[48:49], s[50:51], exec
	s_orn2_b64 s[44:45], s[46:47], exec
.LBB24_18:                              ;   in Loop: Header=BB24_22 Depth=2
	s_or_b64 exec, exec, s[42:43]
	s_orn2_b64 s[42:43], s[48:49], exec
	s_orn2_b64 s[44:45], s[44:45], exec
.LBB24_19:                              ;   in Loop: Header=BB24_22 Depth=2
	s_or_b64 exec, exec, s[40:41]
	s_and_b64 s[42:43], s[42:43], exec
	s_orn2_b64 s[40:41], s[44:45], exec
.LBB24_20:                              ;   in Loop: Header=BB24_22 Depth=2
	s_or_b64 exec, exec, s[38:39]
	s_andn2_b64 s[34:35], s[34:35], exec
	s_and_b64 s[38:39], s[42:43], exec
	s_or_b64 s[34:35], s[34:35], s[38:39]
	s_andn2_b64 s[26:27], s[26:27], exec
	s_and_b64 s[38:39], s[40:41], exec
	s_or_b64 s[26:27], s[26:27], s[38:39]
.LBB24_21:                              ;   in Loop: Header=BB24_22 Depth=2
	s_or_b64 exec, exec, s[36:37]
	s_and_b64 s[36:37], exec, s[26:27]
	s_or_b64 s[24:25], s[36:37], s[24:25]
	s_andn2_b64 s[22:23], s[22:23], exec
	s_and_b64 s[36:37], s[34:35], exec
	s_or_b64 s[22:23], s[22:23], s[36:37]
	s_andn2_b64 exec, exec, s[24:25]
	s_cbranch_execz .LBB24_31
.LBB24_22:                              ;   Parent Loop BB24_13 Depth=1
                                        ; =>  This Inner Loop Header: Depth=2
	v_and_b32_e32 v12, 0x3ff, v13
	v_lshl_add_u32 v14, v12, 2, v18
	ds_read_b32 v15, v14
	s_or_b64 s[34:35], s[34:35], exec
	s_or_b64 s[26:27], s[26:27], exec
	s_waitcnt lgkmcnt(0)
	v_cmp_ne_u32_e32 vcc, v15, v9
	s_and_saveexec_b64 s[36:37], vcc
	s_cbranch_execz .LBB24_21
; %bb.23:                               ;   in Loop: Header=BB24_22 Depth=2
	ds_cmpst_rtn_b32 v14, v14, v10, v9
	s_mov_b64 s[40:41], -1
	s_mov_b64 s[42:43], 0
	s_waitcnt lgkmcnt(0)
	v_cmp_ne_u32_e32 vcc, -1, v14
	s_and_saveexec_b64 s[38:39], vcc
	s_cbranch_execz .LBB24_20
; %bb.24:                               ;   in Loop: Header=BB24_22 Depth=2
	v_add_u32_e32 v12, 1, v13
	v_and_b32_e32 v12, 0x3ff, v12
	v_lshl_add_u32 v14, v12, 2, v18
	ds_read_b32 v15, v14
	s_mov_b64 s[44:45], -1
	s_mov_b64 s[42:43], -1
	s_waitcnt lgkmcnt(0)
	v_cmp_ne_u32_e32 vcc, v15, v9
	s_and_saveexec_b64 s[40:41], vcc
	s_cbranch_execz .LBB24_19
; %bb.25:                               ;   in Loop: Header=BB24_22 Depth=2
	ds_cmpst_rtn_b32 v14, v14, v10, v9
	s_mov_b64 s[48:49], 0
	s_waitcnt lgkmcnt(0)
	v_cmp_ne_u32_e32 vcc, -1, v14
	s_and_saveexec_b64 s[42:43], vcc
	s_cbranch_execz .LBB24_18
; %bb.26:                               ;   in Loop: Header=BB24_22 Depth=2
	v_add_u32_e32 v12, 2, v13
	v_and_b32_e32 v12, 0x3ff, v12
	v_lshl_add_u32 v14, v12, 2, v18
	ds_read_b32 v15, v14
	s_mov_b64 s[46:47], -1
	s_mov_b64 s[50:51], -1
	s_waitcnt lgkmcnt(0)
	v_cmp_ne_u32_e32 vcc, v15, v9
	s_and_saveexec_b64 s[44:45], vcc
	s_cbranch_execz .LBB24_17
; %bb.27:                               ;   in Loop: Header=BB24_22 Depth=2
	ds_cmpst_rtn_b32 v14, v14, v10, v9
	s_mov_b64 s[48:49], -1
	s_mov_b64 s[50:51], 0
	s_waitcnt lgkmcnt(0)
	v_cmp_ne_u32_e32 vcc, -1, v14
	s_and_saveexec_b64 s[46:47], vcc
	s_cbranch_execz .LBB24_16
; %bb.28:                               ;   in Loop: Header=BB24_22 Depth=2
	v_add_u32_e32 v12, 3, v13
	v_and_b32_e32 v12, 0x3ff, v12
	v_lshl_add_u32 v14, v12, 2, v18
	ds_read_b32 v13, v14
	s_mov_b64 s[52:53], -1
	s_mov_b64 s[50:51], -1
	s_waitcnt lgkmcnt(0)
	v_cmp_ne_u32_e32 vcc, v13, v9
                                        ; implicit-def: $vgpr13
	s_and_saveexec_b64 s[48:49], vcc
	s_cbranch_execz .LBB24_15
; %bb.29:                               ;   in Loop: Header=BB24_22 Depth=2
	ds_cmpst_rtn_b32 v13, v14, v10, v9
	s_mov_b64 s[50:51], 0
	s_waitcnt lgkmcnt(0)
	v_cmp_ne_u32_e32 vcc, -1, v13
                                        ; implicit-def: $vgpr13
	s_and_saveexec_b64 s[54:55], vcc
	s_cbranch_execz .LBB24_14
; %bb.30:                               ;   in Loop: Header=BB24_22 Depth=2
	v_add_u32_e32 v11, -4, v11
	v_cmp_eq_u32_e32 vcc, 0, v11
	s_mov_b64 s[50:51], exec
	v_add_u32_e32 v13, 1, v12
	s_orn2_b64 s[52:53], vcc, exec
	s_branch .LBB24_14
.LBB24_31:                              ;   in Loop: Header=BB24_13 Depth=1
	s_or_b64 exec, exec, s[24:25]
	s_xor_b64 s[22:23], s[22:23], -1
	s_and_saveexec_b64 s[24:25], s[22:23]
	s_xor_b64 s[22:23], exec, s[24:25]
	s_cbranch_execz .LBB24_12
; %bb.32:                               ;   in Loop: Header=BB24_13 Depth=1
	v_lshl_add_u32 v9, v12, 2, v7
	ds_write_b32 v9, v8
	s_branch .LBB24_12
.LBB24_33:
	s_or_b64 exec, exec, s[2:3]
	s_waitcnt vmcnt(0)
	v_cmp_lt_i32_e32 vcc, v0, v6
	s_waitcnt lgkmcnt(0)
	s_and_saveexec_b64 s[2:3], vcc
	s_cbranch_execz .LBB24_63
; %bb.34:
	v_add_u32_e32 v19, 1, v16
	s_mov_b64 s[14:15], 0
	s_movk_i32 s29, 0x67
	s_branch .LBB24_37
.LBB24_35:                              ;   in Loop: Header=BB24_37 Depth=1
	s_or_b64 exec, exec, s[24:25]
	v_add_u32_e32 v0, 1, v0
	v_cmp_ge_i32_e32 vcc, v0, v6
	s_orn2_b64 s[24:25], vcc, exec
.LBB24_36:                              ;   in Loop: Header=BB24_37 Depth=1
	s_or_b64 exec, exec, s[22:23]
	s_and_b64 s[22:23], exec, s[24:25]
	s_or_b64 s[14:15], s[22:23], s[14:15]
	s_andn2_b64 exec, exec, s[14:15]
	s_cbranch_execz .LBB24_63
.LBB24_37:                              ; =>This Loop Header: Depth=1
                                        ;     Child Loop BB24_38 Depth 2
                                        ;     Child Loop BB24_43 Depth 2
                                        ;       Child Loop BB24_52 Depth 3
	v_ashrrev_i32_e32 v1, 31, v0
	v_lshl_add_u64 v[8:9], v[0:1], 2, s[6:7]
	global_load_dword v12, v[8:9], off
	v_lshl_add_u64 v[10:11], v[0:1], 3, s[8:9]
	global_load_dwordx2 v[8:9], v[10:11], off
	s_mov_b64 s[22:23], 0
	s_waitcnt vmcnt(1)
	v_subrev_u32_e32 v12, s28, v12
	v_ashrrev_i32_e32 v13, 31, v12
	v_lshlrev_b64 v[12:13], 2, v[12:13]
	v_lshl_add_u64 v[20:21], s[4:5], 0, v[12:13]
	v_lshl_add_u64 v[24:25], s[10:11], 0, v[12:13]
	global_load_dword v1, v[20:21], off offset:4
	global_load_dword v14, v[24:25], off
	v_lshl_add_u64 v[12:13], s[12:13], 0, v[12:13]
.LBB24_38:                              ;   Parent Loop BB24_37 Depth=1
                                        ; =>  This Inner Loop Header: Depth=2
	global_load_dword v15, v[12:13], off sc1
	s_waitcnt vmcnt(0)
	v_cmp_ne_u32_e32 vcc, 0, v15
	s_or_b64 s[22:23], vcc, s[22:23]
	s_andn2_b64 exec, exec, s[22:23]
	s_cbranch_execnz .LBB24_38
; %bb.39:                               ;   in Loop: Header=BB24_37 Depth=1
	s_or_b64 exec, exec, s[22:23]
	v_subrev_u32_e32 v1, s28, v1
	v_add_u32_e32 v12, -1, v1
	v_cmp_eq_u32_e32 vcc, -1, v14
	buffer_inv sc1
	s_mov_b64 s[24:25], -1
	v_cndmask_b32_e32 v12, v14, v12, vcc
	v_ashrrev_i32_e32 v13, 31, v12
	v_lshl_add_u64 v[14:15], v[12:13], 3, s[8:9]
	global_load_dwordx2 v[14:15], v[14:15], off
	s_waitcnt vmcnt(0)
	v_cmp_neq_f64_e32 vcc, 0, v[14:15]
	s_and_saveexec_b64 s[22:23], vcc
	s_cbranch_execz .LBB24_36
; %bb.40:                               ;   in Loop: Header=BB24_37 Depth=1
	v_div_scale_f64 v[20:21], s[24:25], v[14:15], v[14:15], v[8:9]
	v_rcp_f64_e32 v[24:25], v[20:21]
	v_div_scale_f64 v[26:27], vcc, v[8:9], v[14:15], v[8:9]
	v_fma_f64 v[28:29], -v[20:21], v[24:25], 1.0
	v_fmac_f64_e32 v[24:25], v[24:25], v[28:29]
	v_fma_f64 v[28:29], -v[20:21], v[24:25], 1.0
	v_fmac_f64_e32 v[24:25], v[24:25], v[28:29]
	v_mul_f64 v[28:29], v[26:27], v[24:25]
	v_fma_f64 v[20:21], -v[20:21], v[28:29], v[26:27]
	v_div_fmas_f64 v[20:21], v[20:21], v[24:25], v[28:29]
	v_div_fixup_f64 v[8:9], v[20:21], v[14:15], v[8:9]
	global_store_dwordx2 v[10:11], v[8:9], off
	v_add_u32_e32 v10, v19, v12
	v_cmp_lt_i32_e32 vcc, v10, v1
	s_and_saveexec_b64 s[24:25], vcc
	s_cbranch_execz .LBB24_35
; %bb.41:                               ;   in Loop: Header=BB24_37 Depth=1
	s_mov_b64 s[26:27], 0
	s_branch .LBB24_43
.LBB24_42:                              ;   in Loop: Header=BB24_43 Depth=2
	s_or_b64 exec, exec, s[34:35]
	v_add_u32_e32 v10, 64, v10
	v_cmp_ge_i32_e32 vcc, v10, v1
	s_or_b64 s[26:27], vcc, s[26:27]
	s_andn2_b64 exec, exec, s[26:27]
	s_cbranch_execz .LBB24_35
.LBB24_43:                              ;   Parent Loop BB24_37 Depth=1
                                        ; =>  This Loop Header: Depth=2
                                        ;       Child Loop BB24_52 Depth 3
	v_ashrrev_i32_e32 v11, 31, v10
	v_lshl_add_u64 v[12:13], v[10:11], 2, s[6:7]
	global_load_dword v12, v[12:13], off
	v_mov_b32_e32 v13, 0x400
	s_mov_b64 s[36:37], 0
                                        ; implicit-def: $sgpr34_sgpr35
                                        ; implicit-def: $sgpr38_sgpr39
                                        ; implicit-def: $sgpr40_sgpr41
	s_waitcnt vmcnt(0)
	v_mul_lo_u32 v15, v12, s29
	s_branch .LBB24_52
.LBB24_44:                              ;   in Loop: Header=BB24_52 Depth=3
	s_or_b64 exec, exec, s[60:61]
	s_orn2_b64 s[56:57], s[56:57], exec
	s_orn2_b64 s[58:59], s[58:59], exec
.LBB24_45:                              ;   in Loop: Header=BB24_52 Depth=3
	s_or_b64 exec, exec, s[54:55]
	s_and_b64 s[56:57], s[56:57], exec
	s_orn2_b64 s[54:55], s[58:59], exec
.LBB24_46:                              ;   in Loop: Header=BB24_52 Depth=3
	s_or_b64 exec, exec, s[52:53]
	s_orn2_b64 s[56:57], s[56:57], exec
	s_orn2_b64 s[52:53], s[54:55], exec
.LBB24_47:                              ;   in Loop: Header=BB24_52 Depth=3
	s_or_b64 exec, exec, s[50:51]
	s_and_b64 s[54:55], s[56:57], exec
	s_orn2_b64 s[50:51], s[52:53], exec
.LBB24_48:                              ;   in Loop: Header=BB24_52 Depth=3
	s_or_b64 exec, exec, s[48:49]
	s_orn2_b64 s[48:49], s[54:55], exec
	s_orn2_b64 s[50:51], s[50:51], exec
.LBB24_49:                              ;   in Loop: Header=BB24_52 Depth=3
	s_or_b64 exec, exec, s[46:47]
	s_and_b64 s[48:49], s[48:49], exec
	s_orn2_b64 s[46:47], s[50:51], exec
.LBB24_50:                              ;   in Loop: Header=BB24_52 Depth=3
	s_or_b64 exec, exec, s[44:45]
	s_andn2_b64 s[40:41], s[40:41], exec
	s_and_b64 s[44:45], s[48:49], exec
	s_or_b64 s[40:41], s[40:41], s[44:45]
	s_andn2_b64 s[38:39], s[38:39], exec
	s_and_b64 s[44:45], s[46:47], exec
	s_or_b64 s[38:39], s[38:39], s[44:45]
.LBB24_51:                              ;   in Loop: Header=BB24_52 Depth=3
	s_or_b64 exec, exec, s[42:43]
	s_and_b64 s[42:43], exec, s[38:39]
	s_or_b64 s[36:37], s[42:43], s[36:37]
	s_andn2_b64 s[34:35], s[34:35], exec
	s_and_b64 s[42:43], s[40:41], exec
	s_or_b64 s[34:35], s[34:35], s[42:43]
	s_andn2_b64 exec, exec, s[36:37]
	s_cbranch_execz .LBB24_61
.LBB24_52:                              ;   Parent Loop BB24_37 Depth=1
                                        ;     Parent Loop BB24_43 Depth=2
                                        ; =>    This Inner Loop Header: Depth=3
	v_and_b32_e32 v14, 0x3ff, v15
	v_lshl_add_u32 v20, v14, 2, v18
	ds_read_b32 v20, v20
	s_or_b64 s[40:41], s[40:41], exec
	s_or_b64 s[38:39], s[38:39], exec
	s_waitcnt lgkmcnt(0)
	v_cmp_ne_u32_e32 vcc, -1, v20
	s_and_saveexec_b64 s[42:43], vcc
	s_cbranch_execz .LBB24_51
; %bb.53:                               ;   in Loop: Header=BB24_52 Depth=3
	v_cmp_ne_u32_e32 vcc, v20, v12
	s_mov_b64 s[46:47], -1
	s_mov_b64 s[48:49], 0
	s_and_saveexec_b64 s[44:45], vcc
	s_cbranch_execz .LBB24_50
; %bb.54:                               ;   in Loop: Header=BB24_52 Depth=3
	v_add_u32_e32 v14, 1, v15
	v_and_b32_e32 v14, 0x3ff, v14
	v_lshl_add_u32 v20, v14, 2, v18
	ds_read_b32 v20, v20
	s_mov_b64 s[50:51], -1
	s_mov_b64 s[48:49], -1
	s_waitcnt lgkmcnt(0)
	v_cmp_ne_u32_e32 vcc, -1, v20
	s_and_saveexec_b64 s[46:47], vcc
	s_cbranch_execz .LBB24_49
; %bb.55:                               ;   in Loop: Header=BB24_52 Depth=3
	v_cmp_ne_u32_e32 vcc, v20, v12
	s_mov_b64 s[54:55], 0
	s_and_saveexec_b64 s[48:49], vcc
	s_cbranch_execz .LBB24_48
; %bb.56:                               ;   in Loop: Header=BB24_52 Depth=3
	v_add_u32_e32 v14, 2, v15
	v_and_b32_e32 v14, 0x3ff, v14
	v_lshl_add_u32 v20, v14, 2, v18
	ds_read_b32 v20, v20
	s_mov_b64 s[52:53], -1
	s_mov_b64 s[56:57], -1
	s_waitcnt lgkmcnt(0)
	v_cmp_ne_u32_e32 vcc, -1, v20
	s_and_saveexec_b64 s[50:51], vcc
	s_cbranch_execz .LBB24_47
; %bb.57:                               ;   in Loop: Header=BB24_52 Depth=3
	v_cmp_ne_u32_e32 vcc, v20, v12
	s_mov_b64 s[54:55], -1
	s_mov_b64 s[56:57], 0
	s_and_saveexec_b64 s[52:53], vcc
	s_cbranch_execz .LBB24_46
; %bb.58:                               ;   in Loop: Header=BB24_52 Depth=3
	v_add_u32_e32 v14, 3, v15
	v_and_b32_e32 v14, 0x3ff, v14
	v_lshl_add_u32 v15, v14, 2, v18
	ds_read_b32 v20, v15
	s_mov_b64 s[58:59], -1
	s_mov_b64 s[56:57], -1
                                        ; implicit-def: $vgpr15
	s_waitcnt lgkmcnt(0)
	v_cmp_ne_u32_e32 vcc, -1, v20
	s_and_saveexec_b64 s[54:55], vcc
	s_cbranch_execz .LBB24_45
; %bb.59:                               ;   in Loop: Header=BB24_52 Depth=3
	v_cmp_ne_u32_e32 vcc, v20, v12
	s_mov_b64 s[56:57], 0
                                        ; implicit-def: $vgpr15
	s_and_saveexec_b64 s[60:61], vcc
	s_cbranch_execz .LBB24_44
; %bb.60:                               ;   in Loop: Header=BB24_52 Depth=3
	v_add_u32_e32 v13, -4, v13
	v_cmp_eq_u32_e32 vcc, 0, v13
	s_mov_b64 s[56:57], exec
	v_add_u32_e32 v15, 1, v14
	s_orn2_b64 s[58:59], vcc, exec
	s_branch .LBB24_44
.LBB24_61:                              ;   in Loop: Header=BB24_43 Depth=2
	s_or_b64 exec, exec, s[36:37]
	s_xor_b64 s[34:35], s[34:35], -1
	s_and_saveexec_b64 s[36:37], s[34:35]
	s_xor_b64 s[34:35], exec, s[36:37]
	s_cbranch_execz .LBB24_42
; %bb.62:                               ;   in Loop: Header=BB24_43 Depth=2
	v_lshl_add_u32 v12, v14, 2, v7
	ds_read_b32 v12, v12
	v_lshl_add_u64 v[14:15], v[10:11], 3, s[8:9]
	s_waitcnt lgkmcnt(0)
	v_ashrrev_i32_e32 v13, 31, v12
	v_lshl_add_u64 v[12:13], v[12:13], 3, s[8:9]
	global_load_dwordx2 v[20:21], v[14:15], off
	global_load_dwordx2 v[24:25], v[12:13], off
	s_waitcnt vmcnt(0)
	v_fma_f64 v[14:15], -v[8:9], v[20:21], v[24:25]
	global_store_dwordx2 v[12:13], v[14:15], off
	s_branch .LBB24_42
.LBB24_63:
	s_or_b64 exec, exec, s[2:3]
	v_cmp_lt_i32_e32 vcc, -1, v6
	s_and_saveexec_b64 s[6:7], vcc
	s_cbranch_execz .LBB24_79
; %bb.64:
	v_mov_b32_e32 v7, 0
	v_lshl_add_u64 v[8:9], v[6:7], 3, s[8:9]
	global_load_dwordx2 v[0:1], v[8:9], off
	v_cmp_eq_u32_e64 s[2:3], 0, v16
	s_andn2_b64 vcc, exec, s[30:31]
	s_waitcnt vmcnt(0)
	v_xor_b32_e32 v7, 0x80000000, v1
	v_cmp_gt_f64_e64 s[4:5], 0, v[0:1]
	v_mov_b32_e32 v6, v0
	s_nop 0
	v_cndmask_b32_e64 v7, v1, v7, s[4:5]
	s_mov_b64 s[4:5], -1
	s_cbranch_vccnz .LBB24_68
; %bb.65:
	s_cmp_eq_u64 s[20:21], 8
	v_cvt_f64_f32_e32 v[10:11], v17
	s_cselect_b64 vcc, -1, 0
	v_cndmask_b32_e32 v5, v11, v5, vcc
	v_cndmask_b32_e32 v4, v10, v4, vcc
	v_cmp_le_f64_e32 vcc, v[6:7], v[4:5]
	s_and_b64 s[8:9], s[2:3], vcc
	s_and_saveexec_b64 s[4:5], s[8:9]
	s_cbranch_execz .LBB24_67
; %bb.66:
	global_store_dwordx2 v[8:9], v[22:23], off
	buffer_wbl2 sc1
	s_waitcnt vmcnt(0)
	buffer_inv sc1
.LBB24_67:
	s_or_b64 exec, exec, s[4:5]
	s_mov_b64 s[4:5], 0
.LBB24_68:
	s_andn2_b64 vcc, exec, s[4:5]
	s_cbranch_vccnz .LBB24_79
; %bb.69:
	s_load_dwordx2 s[0:1], s[0:1], 0x48
	v_add_u32_e32 v4, s28, v2
	s_waitcnt lgkmcnt(0)
	v_cmp_ge_f64_e32 vcc, s[0:1], v[6:7]
	s_and_b64 s[4:5], s[2:3], vcc
	s_and_saveexec_b64 s[0:1], s[4:5]
	s_cbranch_execz .LBB24_74
; %bb.70:
	s_mov_b64 s[4:5], exec
	s_brev_b32 s8, -2
.LBB24_71:                              ; =>This Inner Loop Header: Depth=1
	s_ff1_i32_b64 s9, s[4:5]
	v_readlane_b32 s14, v4, s9
	s_lshl_b64 s[10:11], 1, s9
	s_min_i32 s8, s8, s14
	s_andn2_b64 s[4:5], s[4:5], s[10:11]
	s_cmp_lg_u64 s[4:5], 0
	s_cbranch_scc1 .LBB24_71
; %bb.72:
	v_mbcnt_lo_u32_b32 v5, exec_lo, 0
	v_mbcnt_hi_u32_b32 v5, exec_hi, v5
	v_cmp_eq_u32_e32 vcc, 0, v5
	s_and_saveexec_b64 s[4:5], vcc
	s_xor_b64 s[4:5], exec, s[4:5]
	s_cbranch_execz .LBB24_74
; %bb.73:
	v_mov_b32_e32 v5, 0
	v_mov_b32_e32 v6, s8
	global_atomic_smin v5, v6, s[18:19]
.LBB24_74:
	s_or_b64 exec, exec, s[0:1]
	v_cmp_eq_f64_e32 vcc, 0, v[0:1]
	s_and_b64 s[0:1], s[2:3], vcc
	s_and_b64 exec, exec, s[0:1]
	s_cbranch_execz .LBB24_79
; %bb.75:
	s_mov_b64 s[0:1], exec
	s_brev_b32 s2, -2
.LBB24_76:                              ; =>This Inner Loop Header: Depth=1
	s_ff1_i32_b64 s3, s[0:1]
	v_readlane_b32 s8, v4, s3
	s_lshl_b64 s[4:5], 1, s3
	s_min_i32 s2, s2, s8
	s_andn2_b64 s[0:1], s[0:1], s[4:5]
	s_cmp_lg_u64 s[0:1], 0
	s_cbranch_scc1 .LBB24_76
; %bb.77:
	v_mbcnt_lo_u32_b32 v0, exec_lo, 0
	v_mbcnt_hi_u32_b32 v0, exec_hi, v0
	v_cmp_eq_u32_e32 vcc, 0, v0
	s_and_saveexec_b64 s[0:1], vcc
	s_xor_b64 s[0:1], exec, s[0:1]
	s_cbranch_execz .LBB24_79
; %bb.78:
	v_mov_b32_e32 v0, 0
	v_mov_b32_e32 v1, s2
	global_atomic_smin v0, v1, s[16:17]
.LBB24_79:
	s_or_b64 exec, exec, s[6:7]
	v_cmp_eq_u32_e32 vcc, 0, v16
	buffer_wbl2 sc1
	s_waitcnt vmcnt(0)
	buffer_inv sc1
	s_and_b64 exec, exec, vcc
	s_cbranch_execz .LBB24_81
; %bb.80:
	v_lshl_add_u64 v[0:1], v[2:3], 2, s[12:13]
	v_mov_b32_e32 v2, 1
	buffer_wbl2 sc1
	global_store_dword v[0:1], v2, off sc1
.LBB24_81:
	s_endpgm
	.section	.rodata,"a",@progbits
	.p2align	6, 0x0
	.amdhsa_kernel _ZN9rocsparseL12csrilu0_hashILj256ELj64ELj16EdEEviPKiS2_PT2_S2_PiS2_S5_S5_d21rocsparse_index_base_imNS_24const_host_device_scalarIfEENS7_IdEENS7_IS3_EEb
		.amdhsa_group_segment_fixed_size 32768
		.amdhsa_private_segment_fixed_size 0
		.amdhsa_kernarg_size 124
		.amdhsa_user_sgpr_count 2
		.amdhsa_user_sgpr_dispatch_ptr 0
		.amdhsa_user_sgpr_queue_ptr 0
		.amdhsa_user_sgpr_kernarg_segment_ptr 1
		.amdhsa_user_sgpr_dispatch_id 0
		.amdhsa_user_sgpr_kernarg_preload_length 0
		.amdhsa_user_sgpr_kernarg_preload_offset 0
		.amdhsa_user_sgpr_private_segment_size 0
		.amdhsa_uses_dynamic_stack 0
		.amdhsa_enable_private_segment 0
		.amdhsa_system_sgpr_workgroup_id_x 1
		.amdhsa_system_sgpr_workgroup_id_y 0
		.amdhsa_system_sgpr_workgroup_id_z 0
		.amdhsa_system_sgpr_workgroup_info 0
		.amdhsa_system_vgpr_workitem_id 0
		.amdhsa_next_free_vgpr 81
		.amdhsa_next_free_sgpr 96
		.amdhsa_accum_offset 32
		.amdhsa_reserve_vcc 1
		.amdhsa_float_round_mode_32 0
		.amdhsa_float_round_mode_16_64 0
		.amdhsa_float_denorm_mode_32 3
		.amdhsa_float_denorm_mode_16_64 3
		.amdhsa_dx10_clamp 1
		.amdhsa_ieee_mode 1
		.amdhsa_fp16_overflow 0
		.amdhsa_tg_split 0
		.amdhsa_exception_fp_ieee_invalid_op 0
		.amdhsa_exception_fp_denorm_src 0
		.amdhsa_exception_fp_ieee_div_zero 0
		.amdhsa_exception_fp_ieee_overflow 0
		.amdhsa_exception_fp_ieee_underflow 0
		.amdhsa_exception_fp_ieee_inexact 0
		.amdhsa_exception_int_div_zero 0
	.end_amdhsa_kernel
	.section	.text._ZN9rocsparseL12csrilu0_hashILj256ELj64ELj16EdEEviPKiS2_PT2_S2_PiS2_S5_S5_d21rocsparse_index_base_imNS_24const_host_device_scalarIfEENS7_IdEENS7_IS3_EEb,"axG",@progbits,_ZN9rocsparseL12csrilu0_hashILj256ELj64ELj16EdEEviPKiS2_PT2_S2_PiS2_S5_S5_d21rocsparse_index_base_imNS_24const_host_device_scalarIfEENS7_IdEENS7_IS3_EEb,comdat
.Lfunc_end24:
	.size	_ZN9rocsparseL12csrilu0_hashILj256ELj64ELj16EdEEviPKiS2_PT2_S2_PiS2_S5_S5_d21rocsparse_index_base_imNS_24const_host_device_scalarIfEENS7_IdEENS7_IS3_EEb, .Lfunc_end24-_ZN9rocsparseL12csrilu0_hashILj256ELj64ELj16EdEEviPKiS2_PT2_S2_PiS2_S5_S5_d21rocsparse_index_base_imNS_24const_host_device_scalarIfEENS7_IdEENS7_IS3_EEb
                                        ; -- End function
	.set _ZN9rocsparseL12csrilu0_hashILj256ELj64ELj16EdEEviPKiS2_PT2_S2_PiS2_S5_S5_d21rocsparse_index_base_imNS_24const_host_device_scalarIfEENS7_IdEENS7_IS3_EEb.num_vgpr, 30
	.set _ZN9rocsparseL12csrilu0_hashILj256ELj64ELj16EdEEviPKiS2_PT2_S2_PiS2_S5_S5_d21rocsparse_index_base_imNS_24const_host_device_scalarIfEENS7_IdEENS7_IS3_EEb.num_agpr, 0
	.set _ZN9rocsparseL12csrilu0_hashILj256ELj64ELj16EdEEviPKiS2_PT2_S2_PiS2_S5_S5_d21rocsparse_index_base_imNS_24const_host_device_scalarIfEENS7_IdEENS7_IS3_EEb.numbered_sgpr, 62
	.set _ZN9rocsparseL12csrilu0_hashILj256ELj64ELj16EdEEviPKiS2_PT2_S2_PiS2_S5_S5_d21rocsparse_index_base_imNS_24const_host_device_scalarIfEENS7_IdEENS7_IS3_EEb.num_named_barrier, 0
	.set _ZN9rocsparseL12csrilu0_hashILj256ELj64ELj16EdEEviPKiS2_PT2_S2_PiS2_S5_S5_d21rocsparse_index_base_imNS_24const_host_device_scalarIfEENS7_IdEENS7_IS3_EEb.private_seg_size, 0
	.set _ZN9rocsparseL12csrilu0_hashILj256ELj64ELj16EdEEviPKiS2_PT2_S2_PiS2_S5_S5_d21rocsparse_index_base_imNS_24const_host_device_scalarIfEENS7_IdEENS7_IS3_EEb.uses_vcc, 1
	.set _ZN9rocsparseL12csrilu0_hashILj256ELj64ELj16EdEEviPKiS2_PT2_S2_PiS2_S5_S5_d21rocsparse_index_base_imNS_24const_host_device_scalarIfEENS7_IdEENS7_IS3_EEb.uses_flat_scratch, 0
	.set _ZN9rocsparseL12csrilu0_hashILj256ELj64ELj16EdEEviPKiS2_PT2_S2_PiS2_S5_S5_d21rocsparse_index_base_imNS_24const_host_device_scalarIfEENS7_IdEENS7_IS3_EEb.has_dyn_sized_stack, 0
	.set _ZN9rocsparseL12csrilu0_hashILj256ELj64ELj16EdEEviPKiS2_PT2_S2_PiS2_S5_S5_d21rocsparse_index_base_imNS_24const_host_device_scalarIfEENS7_IdEENS7_IS3_EEb.has_recursion, 0
	.set _ZN9rocsparseL12csrilu0_hashILj256ELj64ELj16EdEEviPKiS2_PT2_S2_PiS2_S5_S5_d21rocsparse_index_base_imNS_24const_host_device_scalarIfEENS7_IdEENS7_IS3_EEb.has_indirect_call, 0
	.section	.AMDGPU.csdata,"",@progbits
; Kernel info:
; codeLenInByte = 2500
; TotalNumSgprs: 68
; NumVgprs: 30
; NumAgprs: 0
; TotalNumVgprs: 30
; ScratchSize: 0
; MemoryBound: 0
; FloatMode: 240
; IeeeMode: 1
; LDSByteSize: 32768 bytes/workgroup (compile time only)
; SGPRBlocks: 12
; VGPRBlocks: 10
; NumSGPRsForWavesPerEU: 102
; NumVGPRsForWavesPerEU: 81
; AccumOffset: 32
; Occupancy: 5
; WaveLimiterHint : 1
; COMPUTE_PGM_RSRC2:SCRATCH_EN: 0
; COMPUTE_PGM_RSRC2:USER_SGPR: 2
; COMPUTE_PGM_RSRC2:TRAP_HANDLER: 0
; COMPUTE_PGM_RSRC2:TGID_X_EN: 1
; COMPUTE_PGM_RSRC2:TGID_Y_EN: 0
; COMPUTE_PGM_RSRC2:TGID_Z_EN: 0
; COMPUTE_PGM_RSRC2:TIDIG_COMP_CNT: 0
; COMPUTE_PGM_RSRC3_GFX90A:ACCUM_OFFSET: 7
; COMPUTE_PGM_RSRC3_GFX90A:TG_SPLIT: 0
	.section	.text._ZN9rocsparseL17csrilu0_binsearchILj256ELj64ELb0EdEEviPKiS2_PT2_S2_PiS2_S5_S5_d21rocsparse_index_base_imNS_24const_host_device_scalarIfEENS7_IdEENS7_IS3_EEb,"axG",@progbits,_ZN9rocsparseL17csrilu0_binsearchILj256ELj64ELb0EdEEviPKiS2_PT2_S2_PiS2_S5_S5_d21rocsparse_index_base_imNS_24const_host_device_scalarIfEENS7_IdEENS7_IS3_EEb,comdat
	.globl	_ZN9rocsparseL17csrilu0_binsearchILj256ELj64ELb0EdEEviPKiS2_PT2_S2_PiS2_S5_S5_d21rocsparse_index_base_imNS_24const_host_device_scalarIfEENS7_IdEENS7_IS3_EEb ; -- Begin function _ZN9rocsparseL17csrilu0_binsearchILj256ELj64ELb0EdEEviPKiS2_PT2_S2_PiS2_S5_S5_d21rocsparse_index_base_imNS_24const_host_device_scalarIfEENS7_IdEENS7_IS3_EEb
	.p2align	8
	.type	_ZN9rocsparseL17csrilu0_binsearchILj256ELj64ELb0EdEEviPKiS2_PT2_S2_PiS2_S5_S5_d21rocsparse_index_base_imNS_24const_host_device_scalarIfEENS7_IdEENS7_IS3_EEb,@function
_ZN9rocsparseL17csrilu0_binsearchILj256ELj64ELb0EdEEviPKiS2_PT2_S2_PiS2_S5_S5_d21rocsparse_index_base_imNS_24const_host_device_scalarIfEENS7_IdEENS7_IS3_EEb: ; @_ZN9rocsparseL17csrilu0_binsearchILj256ELj64ELb0EdEEviPKiS2_PT2_S2_PiS2_S5_S5_d21rocsparse_index_base_imNS_24const_host_device_scalarIfEENS7_IdEENS7_IS3_EEb
; %bb.0:
	s_load_dword s3, s[0:1], 0x78
	s_load_dwordx2 s[28:29], s[0:1], 0x50
	s_load_dwordx8 s[20:27], s[0:1], 0x58
	s_waitcnt lgkmcnt(0)
	s_bitcmp1_b32 s3, 0
	s_cselect_b64 s[4:5], -1, 0
	s_cmp_eq_u32 s29, 0
	s_cselect_b64 s[6:7], -1, 0
	s_cmp_lg_u32 s29, 0
	s_cselect_b64 s[30:31], -1, 0
	s_or_b64 s[4:5], s[6:7], s[4:5]
	s_xor_b64 s[8:9], s[4:5], -1
	s_and_b64 s[10:11], s[6:7], exec
	s_cselect_b32 s11, 0, s25
	s_cselect_b32 s10, 0, s24
	s_and_b64 vcc, exec, s[4:5]
	s_cbranch_vccnz .LBB25_2
; %bb.1:
	s_load_dword s3, s[22:23], 0x0
	s_mov_b64 s[10:11], s[24:25]
	s_waitcnt lgkmcnt(0)
	v_mov_b32_e32 v17, s3
	s_branch .LBB25_3
.LBB25_2:
	v_mov_b32_e32 v1, s22
	v_cndmask_b32_e64 v17, v1, 0, s[6:7]
.LBB25_3:
	v_cndmask_b32_e64 v1, 0, 1, s[8:9]
	v_cmp_ne_u32_e64 s[4:5], 1, v1
	s_andn2_b64 vcc, exec, s[8:9]
	v_mov_b64_e32 v[4:5], s[10:11]
	s_cbranch_vccnz .LBB25_5
; %bb.4:
	v_mov_b64_e32 v[2:3], s[24:25]
	flat_load_dwordx2 v[4:5], v[2:3]
.LBB25_5:
	s_and_b64 s[6:7], s[6:7], exec
	s_cselect_b32 s7, 0, s27
	s_cselect_b32 s6, 0, s26
	s_and_b64 vcc, exec, s[4:5]
	v_mov_b64_e32 v[20:21], s[6:7]
	s_cbranch_vccnz .LBB25_7
; %bb.6:
	v_mov_b64_e32 v[2:3], s[26:27]
	flat_load_dwordx2 v[20:21], v[2:3]
.LBB25_7:
	s_load_dword s3, s[0:1], 0x0
	s_lshl_b32 s2, s2, 2
	v_lshrrev_b32_e32 v1, 6, v0
	s_and_b32 s2, s2, 0x3fffffc
	v_or_b32_e32 v1, s2, v1
	s_waitcnt lgkmcnt(0)
	v_cmp_gt_i32_e32 vcc, s3, v1
	s_and_saveexec_b64 s[2:3], vcc
	s_cbranch_execz .LBB25_43
; %bb.8:
	s_load_dwordx16 s[4:19], s[0:1], 0x8
	v_lshlrev_b32_e32 v1, 2, v1
	v_and_b32_e32 v16, 63, v0
	s_waitcnt lgkmcnt(0)
	global_load_dword v2, v1, s[14:15]
	s_waitcnt vmcnt(0)
	v_ashrrev_i32_e32 v3, 31, v2
	v_lshlrev_b64 v[6:7], 2, v[2:3]
	v_lshl_add_u64 v[8:9], s[4:5], 0, v[6:7]
	v_lshl_add_u64 v[10:11], s[10:11], 0, v[6:7]
	global_load_dword v1, v[8:9], off
	global_load_dword v6, v[10:11], off
	s_waitcnt vmcnt(1)
	v_subrev_u32_e32 v0, s28, v1
	s_waitcnt vmcnt(0)
	v_cmp_lt_i32_e32 vcc, v0, v6
	s_and_saveexec_b64 s[2:3], vcc
	s_cbranch_execz .LBB25_25
; %bb.9:
	global_load_dword v1, v[8:9], off offset:4
	v_add_u32_e32 v7, 1, v16
	s_mov_b64 s[14:15], 0
	s_waitcnt vmcnt(0)
	v_xad_u32 v18, s28, -1, v1
	s_branch .LBB25_12
.LBB25_10:                              ;   in Loop: Header=BB25_12 Depth=1
	s_or_b64 exec, exec, s[24:25]
	v_cmp_ge_i32_e32 vcc, v0, v6
	s_orn2_b64 s[24:25], vcc, exec
.LBB25_11:                              ;   in Loop: Header=BB25_12 Depth=1
	s_or_b64 exec, exec, s[22:23]
	s_and_b64 s[22:23], exec, s[24:25]
	s_or_b64 s[14:15], s[22:23], s[14:15]
	s_andn2_b64 exec, exec, s[14:15]
	s_cbranch_execz .LBB25_25
.LBB25_12:                              ; =>This Loop Header: Depth=1
                                        ;     Child Loop BB25_14 Depth 2
                                        ;     Child Loop BB25_19 Depth 2
                                        ;       Child Loop BB25_21 Depth 3
	v_ashrrev_i32_e32 v1, 31, v0
	v_lshl_add_u64 v[8:9], v[0:1], 2, s[6:7]
	global_load_dword v12, v[8:9], off
	v_lshl_add_u64 v[10:11], v[0:1], 3, s[8:9]
	global_load_dwordx2 v[8:9], v[10:11], off
	s_waitcnt vmcnt(1)
	v_subrev_u32_e32 v12, s28, v12
	v_ashrrev_i32_e32 v13, 31, v12
	v_lshlrev_b64 v[12:13], 2, v[12:13]
	v_lshl_add_u64 v[22:23], s[4:5], 0, v[12:13]
	v_lshl_add_u64 v[24:25], s[10:11], 0, v[12:13]
	;; [unrolled: 1-line block ×3, first 2 shown]
	global_load_dword v1, v[22:23], off offset:4
	global_load_dword v14, v[24:25], off
	global_load_dword v15, v[12:13], off sc1
	s_waitcnt vmcnt(0)
	v_cmp_eq_u32_e32 vcc, 0, v15
	s_and_saveexec_b64 s[22:23], vcc
	s_cbranch_execz .LBB25_15
; %bb.13:                               ;   in Loop: Header=BB25_12 Depth=1
	s_mov_b64 s[24:25], 0
.LBB25_14:                              ;   Parent Loop BB25_12 Depth=1
                                        ; =>  This Inner Loop Header: Depth=2
	global_load_dword v15, v[12:13], off sc1
	s_waitcnt vmcnt(0)
	v_cmp_ne_u32_e32 vcc, 0, v15
	s_or_b64 s[24:25], vcc, s[24:25]
	s_andn2_b64 exec, exec, s[24:25]
	s_cbranch_execnz .LBB25_14
.LBB25_15:                              ;   in Loop: Header=BB25_12 Depth=1
	s_or_b64 exec, exec, s[22:23]
	v_subrev_u32_e32 v1, s28, v1
	v_add_u32_e32 v12, -1, v1
	v_cmp_eq_u32_e32 vcc, -1, v14
	buffer_inv sc1
	s_mov_b64 s[24:25], -1
	v_cndmask_b32_e32 v12, v14, v12, vcc
	v_ashrrev_i32_e32 v13, 31, v12
	v_lshl_add_u64 v[14:15], v[12:13], 3, s[8:9]
	global_load_dwordx2 v[14:15], v[14:15], off
	s_waitcnt vmcnt(0)
	v_cmp_neq_f64_e32 vcc, 0, v[14:15]
	s_and_saveexec_b64 s[22:23], vcc
	s_xor_b64 s[22:23], exec, s[22:23]
	s_cbranch_execz .LBB25_11
; %bb.16:                               ;   in Loop: Header=BB25_12 Depth=1
	v_div_scale_f64 v[22:23], s[24:25], v[14:15], v[14:15], v[8:9]
	v_rcp_f64_e32 v[24:25], v[22:23]
	v_div_scale_f64 v[26:27], vcc, v[8:9], v[14:15], v[8:9]
	v_add_u32_e32 v0, 1, v0
	v_fma_f64 v[28:29], -v[22:23], v[24:25], 1.0
	v_fmac_f64_e32 v[24:25], v[24:25], v[28:29]
	v_fma_f64 v[28:29], -v[22:23], v[24:25], 1.0
	v_fmac_f64_e32 v[24:25], v[24:25], v[28:29]
	v_mul_f64 v[28:29], v[26:27], v[24:25]
	v_fma_f64 v[22:23], -v[22:23], v[28:29], v[26:27]
	v_div_fmas_f64 v[22:23], v[22:23], v[24:25], v[28:29]
	v_div_fixup_f64 v[8:9], v[22:23], v[14:15], v[8:9]
	global_store_dwordx2 v[10:11], v[8:9], off
	v_add_u32_e32 v10, v7, v12
	v_cmp_lt_i32_e32 vcc, v10, v1
	s_and_saveexec_b64 s[24:25], vcc
	s_cbranch_execz .LBB25_10
; %bb.17:                               ;   in Loop: Header=BB25_12 Depth=1
	s_mov_b64 s[26:27], 0
	v_mov_b32_e32 v12, v0
	s_branch .LBB25_19
.LBB25_18:                              ;   in Loop: Header=BB25_19 Depth=2
	s_or_b64 exec, exec, s[34:35]
	v_add_u32_e32 v10, 64, v10
	v_cmp_ge_i32_e32 vcc, v10, v1
	s_or_b64 s[26:27], vcc, s[26:27]
	s_andn2_b64 exec, exec, s[26:27]
	s_cbranch_execz .LBB25_10
.LBB25_19:                              ;   Parent Loop BB25_12 Depth=1
                                        ; =>  This Loop Header: Depth=2
                                        ;       Child Loop BB25_21 Depth 3
	v_add_u32_e32 v13, v12, v18
	v_ashrrev_i32_e32 v11, 31, v10
	v_ashrrev_i32_e32 v14, 1, v13
	v_lshl_add_u64 v[22:23], v[10:11], 2, s[6:7]
	v_ashrrev_i32_e32 v15, 31, v14
	v_lshl_add_u64 v[24:25], v[14:15], 2, s[6:7]
	global_load_dword v13, v[22:23], off
	global_load_dword v15, v[24:25], off
	v_cmp_lt_i32_e32 vcc, v12, v18
	s_and_saveexec_b64 s[34:35], vcc
	s_cbranch_execz .LBB25_23
; %bb.20:                               ;   in Loop: Header=BB25_19 Depth=2
	s_mov_b64 s[36:37], 0
	v_mov_b32_e32 v19, v18
.LBB25_21:                              ;   Parent Loop BB25_12 Depth=1
                                        ;     Parent Loop BB25_19 Depth=2
                                        ; =>    This Inner Loop Header: Depth=3
	v_add_u32_e32 v22, 1, v14
	s_waitcnt vmcnt(0)
	v_cmp_lt_i32_e32 vcc, v15, v13
	s_nop 1
	v_cndmask_b32_e32 v19, v14, v19, vcc
	v_cndmask_b32_e32 v12, v12, v22, vcc
	v_add_u32_e32 v14, v19, v12
	v_ashrrev_i32_e32 v14, 1, v14
	v_ashrrev_i32_e32 v15, 31, v14
	v_lshl_add_u64 v[22:23], v[14:15], 2, s[6:7]
	global_load_dword v15, v[22:23], off
	v_cmp_ge_i32_e32 vcc, v12, v19
	s_or_b64 s[36:37], vcc, s[36:37]
	s_andn2_b64 exec, exec, s[36:37]
	s_cbranch_execnz .LBB25_21
; %bb.22:                               ;   in Loop: Header=BB25_19 Depth=2
	s_or_b64 exec, exec, s[36:37]
.LBB25_23:                              ;   in Loop: Header=BB25_19 Depth=2
	s_or_b64 exec, exec, s[34:35]
	s_waitcnt vmcnt(0)
	v_cmp_eq_u32_e32 vcc, v15, v13
	s_and_saveexec_b64 s[34:35], vcc
	s_cbranch_execz .LBB25_18
; %bb.24:                               ;   in Loop: Header=BB25_19 Depth=2
	v_lshl_add_u64 v[14:15], v[10:11], 3, s[8:9]
	v_ashrrev_i32_e32 v13, 31, v12
	v_lshl_add_u64 v[22:23], v[12:13], 3, s[8:9]
	global_load_dwordx2 v[24:25], v[14:15], off
	global_load_dwordx2 v[26:27], v[22:23], off
	s_waitcnt vmcnt(0)
	v_fma_f64 v[14:15], -v[8:9], v[24:25], v[26:27]
	global_store_dwordx2 v[22:23], v[14:15], off
	s_branch .LBB25_18
.LBB25_25:
	s_or_b64 exec, exec, s[2:3]
	v_cmp_lt_i32_e32 vcc, -1, v6
	s_and_saveexec_b64 s[6:7], vcc
	s_cbranch_execz .LBB25_41
; %bb.26:
	v_mov_b32_e32 v7, 0
	v_lshl_add_u64 v[8:9], v[6:7], 3, s[8:9]
	global_load_dwordx2 v[0:1], v[8:9], off
	v_cmp_eq_u32_e64 s[2:3], 0, v16
	s_andn2_b64 vcc, exec, s[30:31]
	s_waitcnt vmcnt(0)
	v_xor_b32_e32 v7, 0x80000000, v1
	v_cmp_gt_f64_e64 s[4:5], 0, v[0:1]
	v_mov_b32_e32 v6, v0
	s_nop 0
	v_cndmask_b32_e64 v7, v1, v7, s[4:5]
	s_mov_b64 s[4:5], -1
	s_cbranch_vccnz .LBB25_30
; %bb.27:
	s_cmp_eq_u64 s[20:21], 8
	v_cvt_f64_f32_e32 v[10:11], v17
	s_cselect_b64 vcc, -1, 0
	v_cndmask_b32_e32 v5, v11, v5, vcc
	v_cndmask_b32_e32 v4, v10, v4, vcc
	v_cmp_le_f64_e32 vcc, v[6:7], v[4:5]
	s_and_b64 s[8:9], s[2:3], vcc
	s_and_saveexec_b64 s[4:5], s[8:9]
	s_cbranch_execz .LBB25_29
; %bb.28:
	global_store_dwordx2 v[8:9], v[20:21], off
.LBB25_29:
	s_or_b64 exec, exec, s[4:5]
	s_mov_b64 s[4:5], 0
.LBB25_30:
	s_andn2_b64 vcc, exec, s[4:5]
	s_cbranch_vccnz .LBB25_41
; %bb.31:
	s_load_dwordx2 s[0:1], s[0:1], 0x48
	v_add_u32_e32 v4, s28, v2
	s_waitcnt lgkmcnt(0)
	v_cmp_ge_f64_e32 vcc, s[0:1], v[6:7]
	s_and_b64 s[4:5], s[2:3], vcc
	s_and_saveexec_b64 s[0:1], s[4:5]
	s_cbranch_execz .LBB25_36
; %bb.32:
	s_mov_b64 s[4:5], exec
	s_brev_b32 s8, -2
.LBB25_33:                              ; =>This Inner Loop Header: Depth=1
	s_ff1_i32_b64 s9, s[4:5]
	v_readlane_b32 s14, v4, s9
	s_lshl_b64 s[10:11], 1, s9
	s_min_i32 s8, s8, s14
	s_andn2_b64 s[4:5], s[4:5], s[10:11]
	s_cmp_lg_u64 s[4:5], 0
	s_cbranch_scc1 .LBB25_33
; %bb.34:
	v_mbcnt_lo_u32_b32 v5, exec_lo, 0
	v_mbcnt_hi_u32_b32 v5, exec_hi, v5
	v_cmp_eq_u32_e32 vcc, 0, v5
	s_and_saveexec_b64 s[4:5], vcc
	s_xor_b64 s[4:5], exec, s[4:5]
	s_cbranch_execz .LBB25_36
; %bb.35:
	v_mov_b32_e32 v5, 0
	v_mov_b32_e32 v6, s8
	global_atomic_smin v5, v6, s[18:19]
.LBB25_36:
	s_or_b64 exec, exec, s[0:1]
	v_cmp_eq_f64_e32 vcc, 0, v[0:1]
	s_and_b64 s[0:1], s[2:3], vcc
	s_and_b64 exec, exec, s[0:1]
	s_cbranch_execz .LBB25_41
; %bb.37:
	s_mov_b64 s[0:1], exec
	s_brev_b32 s2, -2
.LBB25_38:                              ; =>This Inner Loop Header: Depth=1
	s_ff1_i32_b64 s3, s[0:1]
	v_readlane_b32 s8, v4, s3
	s_lshl_b64 s[4:5], 1, s3
	s_min_i32 s2, s2, s8
	s_andn2_b64 s[0:1], s[0:1], s[4:5]
	s_cmp_lg_u64 s[0:1], 0
	s_cbranch_scc1 .LBB25_38
; %bb.39:
	v_mbcnt_lo_u32_b32 v0, exec_lo, 0
	v_mbcnt_hi_u32_b32 v0, exec_hi, v0
	v_cmp_eq_u32_e32 vcc, 0, v0
	s_and_saveexec_b64 s[0:1], vcc
	s_xor_b64 s[0:1], exec, s[0:1]
	s_cbranch_execz .LBB25_41
; %bb.40:
	v_mov_b32_e32 v0, 0
	v_mov_b32_e32 v1, s2
	global_atomic_smin v0, v1, s[16:17]
.LBB25_41:
	s_or_b64 exec, exec, s[6:7]
	v_cmp_eq_u32_e32 vcc, 0, v16
	buffer_wbl2 sc1
	s_waitcnt vmcnt(0)
	buffer_inv sc1
	s_and_b64 exec, exec, vcc
	s_cbranch_execz .LBB25_43
; %bb.42:
	v_lshl_add_u64 v[0:1], v[2:3], 2, s[12:13]
	v_mov_b32_e32 v2, 1
	buffer_wbl2 sc1
	global_store_dword v[0:1], v2, off sc1
.LBB25_43:
	s_endpgm
	.section	.rodata,"a",@progbits
	.p2align	6, 0x0
	.amdhsa_kernel _ZN9rocsparseL17csrilu0_binsearchILj256ELj64ELb0EdEEviPKiS2_PT2_S2_PiS2_S5_S5_d21rocsparse_index_base_imNS_24const_host_device_scalarIfEENS7_IdEENS7_IS3_EEb
		.amdhsa_group_segment_fixed_size 0
		.amdhsa_private_segment_fixed_size 0
		.amdhsa_kernarg_size 124
		.amdhsa_user_sgpr_count 2
		.amdhsa_user_sgpr_dispatch_ptr 0
		.amdhsa_user_sgpr_queue_ptr 0
		.amdhsa_user_sgpr_kernarg_segment_ptr 1
		.amdhsa_user_sgpr_dispatch_id 0
		.amdhsa_user_sgpr_kernarg_preload_length 0
		.amdhsa_user_sgpr_kernarg_preload_offset 0
		.amdhsa_user_sgpr_private_segment_size 0
		.amdhsa_uses_dynamic_stack 0
		.amdhsa_enable_private_segment 0
		.amdhsa_system_sgpr_workgroup_id_x 1
		.amdhsa_system_sgpr_workgroup_id_y 0
		.amdhsa_system_sgpr_workgroup_id_z 0
		.amdhsa_system_sgpr_workgroup_info 0
		.amdhsa_system_vgpr_workitem_id 0
		.amdhsa_next_free_vgpr 30
		.amdhsa_next_free_sgpr 38
		.amdhsa_accum_offset 32
		.amdhsa_reserve_vcc 1
		.amdhsa_float_round_mode_32 0
		.amdhsa_float_round_mode_16_64 0
		.amdhsa_float_denorm_mode_32 3
		.amdhsa_float_denorm_mode_16_64 3
		.amdhsa_dx10_clamp 1
		.amdhsa_ieee_mode 1
		.amdhsa_fp16_overflow 0
		.amdhsa_tg_split 0
		.amdhsa_exception_fp_ieee_invalid_op 0
		.amdhsa_exception_fp_denorm_src 0
		.amdhsa_exception_fp_ieee_div_zero 0
		.amdhsa_exception_fp_ieee_overflow 0
		.amdhsa_exception_fp_ieee_underflow 0
		.amdhsa_exception_fp_ieee_inexact 0
		.amdhsa_exception_int_div_zero 0
	.end_amdhsa_kernel
	.section	.text._ZN9rocsparseL17csrilu0_binsearchILj256ELj64ELb0EdEEviPKiS2_PT2_S2_PiS2_S5_S5_d21rocsparse_index_base_imNS_24const_host_device_scalarIfEENS7_IdEENS7_IS3_EEb,"axG",@progbits,_ZN9rocsparseL17csrilu0_binsearchILj256ELj64ELb0EdEEviPKiS2_PT2_S2_PiS2_S5_S5_d21rocsparse_index_base_imNS_24const_host_device_scalarIfEENS7_IdEENS7_IS3_EEb,comdat
.Lfunc_end25:
	.size	_ZN9rocsparseL17csrilu0_binsearchILj256ELj64ELb0EdEEviPKiS2_PT2_S2_PiS2_S5_S5_d21rocsparse_index_base_imNS_24const_host_device_scalarIfEENS7_IdEENS7_IS3_EEb, .Lfunc_end25-_ZN9rocsparseL17csrilu0_binsearchILj256ELj64ELb0EdEEviPKiS2_PT2_S2_PiS2_S5_S5_d21rocsparse_index_base_imNS_24const_host_device_scalarIfEENS7_IdEENS7_IS3_EEb
                                        ; -- End function
	.set _ZN9rocsparseL17csrilu0_binsearchILj256ELj64ELb0EdEEviPKiS2_PT2_S2_PiS2_S5_S5_d21rocsparse_index_base_imNS_24const_host_device_scalarIfEENS7_IdEENS7_IS3_EEb.num_vgpr, 30
	.set _ZN9rocsparseL17csrilu0_binsearchILj256ELj64ELb0EdEEviPKiS2_PT2_S2_PiS2_S5_S5_d21rocsparse_index_base_imNS_24const_host_device_scalarIfEENS7_IdEENS7_IS3_EEb.num_agpr, 0
	.set _ZN9rocsparseL17csrilu0_binsearchILj256ELj64ELb0EdEEviPKiS2_PT2_S2_PiS2_S5_S5_d21rocsparse_index_base_imNS_24const_host_device_scalarIfEENS7_IdEENS7_IS3_EEb.numbered_sgpr, 38
	.set _ZN9rocsparseL17csrilu0_binsearchILj256ELj64ELb0EdEEviPKiS2_PT2_S2_PiS2_S5_S5_d21rocsparse_index_base_imNS_24const_host_device_scalarIfEENS7_IdEENS7_IS3_EEb.num_named_barrier, 0
	.set _ZN9rocsparseL17csrilu0_binsearchILj256ELj64ELb0EdEEviPKiS2_PT2_S2_PiS2_S5_S5_d21rocsparse_index_base_imNS_24const_host_device_scalarIfEENS7_IdEENS7_IS3_EEb.private_seg_size, 0
	.set _ZN9rocsparseL17csrilu0_binsearchILj256ELj64ELb0EdEEviPKiS2_PT2_S2_PiS2_S5_S5_d21rocsparse_index_base_imNS_24const_host_device_scalarIfEENS7_IdEENS7_IS3_EEb.uses_vcc, 1
	.set _ZN9rocsparseL17csrilu0_binsearchILj256ELj64ELb0EdEEviPKiS2_PT2_S2_PiS2_S5_S5_d21rocsparse_index_base_imNS_24const_host_device_scalarIfEENS7_IdEENS7_IS3_EEb.uses_flat_scratch, 0
	.set _ZN9rocsparseL17csrilu0_binsearchILj256ELj64ELb0EdEEviPKiS2_PT2_S2_PiS2_S5_S5_d21rocsparse_index_base_imNS_24const_host_device_scalarIfEENS7_IdEENS7_IS3_EEb.has_dyn_sized_stack, 0
	.set _ZN9rocsparseL17csrilu0_binsearchILj256ELj64ELb0EdEEviPKiS2_PT2_S2_PiS2_S5_S5_d21rocsparse_index_base_imNS_24const_host_device_scalarIfEENS7_IdEENS7_IS3_EEb.has_recursion, 0
	.set _ZN9rocsparseL17csrilu0_binsearchILj256ELj64ELb0EdEEviPKiS2_PT2_S2_PiS2_S5_S5_d21rocsparse_index_base_imNS_24const_host_device_scalarIfEENS7_IdEENS7_IS3_EEb.has_indirect_call, 0
	.section	.AMDGPU.csdata,"",@progbits
; Kernel info:
; codeLenInByte = 1432
; TotalNumSgprs: 44
; NumVgprs: 30
; NumAgprs: 0
; TotalNumVgprs: 30
; ScratchSize: 0
; MemoryBound: 0
; FloatMode: 240
; IeeeMode: 1
; LDSByteSize: 0 bytes/workgroup (compile time only)
; SGPRBlocks: 5
; VGPRBlocks: 3
; NumSGPRsForWavesPerEU: 44
; NumVGPRsForWavesPerEU: 30
; AccumOffset: 32
; Occupancy: 8
; WaveLimiterHint : 1
; COMPUTE_PGM_RSRC2:SCRATCH_EN: 0
; COMPUTE_PGM_RSRC2:USER_SGPR: 2
; COMPUTE_PGM_RSRC2:TRAP_HANDLER: 0
; COMPUTE_PGM_RSRC2:TGID_X_EN: 1
; COMPUTE_PGM_RSRC2:TGID_Y_EN: 0
; COMPUTE_PGM_RSRC2:TGID_Z_EN: 0
; COMPUTE_PGM_RSRC2:TIDIG_COMP_CNT: 0
; COMPUTE_PGM_RSRC3_GFX90A:ACCUM_OFFSET: 7
; COMPUTE_PGM_RSRC3_GFX90A:TG_SPLIT: 0
	.section	.text._ZN9rocsparseL17csrilu0_binsearchILj256ELj64ELb1E21rocsparse_complex_numIfEEEviPKiS4_PT2_S4_PiS4_S7_S7_d21rocsparse_index_base_imNS_24const_host_device_scalarIfEENS9_IdEENS9_IS5_EEb,"axG",@progbits,_ZN9rocsparseL17csrilu0_binsearchILj256ELj64ELb1E21rocsparse_complex_numIfEEEviPKiS4_PT2_S4_PiS4_S7_S7_d21rocsparse_index_base_imNS_24const_host_device_scalarIfEENS9_IdEENS9_IS5_EEb,comdat
	.globl	_ZN9rocsparseL17csrilu0_binsearchILj256ELj64ELb1E21rocsparse_complex_numIfEEEviPKiS4_PT2_S4_PiS4_S7_S7_d21rocsparse_index_base_imNS_24const_host_device_scalarIfEENS9_IdEENS9_IS5_EEb ; -- Begin function _ZN9rocsparseL17csrilu0_binsearchILj256ELj64ELb1E21rocsparse_complex_numIfEEEviPKiS4_PT2_S4_PiS4_S7_S7_d21rocsparse_index_base_imNS_24const_host_device_scalarIfEENS9_IdEENS9_IS5_EEb
	.p2align	8
	.type	_ZN9rocsparseL17csrilu0_binsearchILj256ELj64ELb1E21rocsparse_complex_numIfEEEviPKiS4_PT2_S4_PiS4_S7_S7_d21rocsparse_index_base_imNS_24const_host_device_scalarIfEENS9_IdEENS9_IS5_EEb,@function
_ZN9rocsparseL17csrilu0_binsearchILj256ELj64ELb1E21rocsparse_complex_numIfEEEviPKiS4_PT2_S4_PiS4_S7_S7_d21rocsparse_index_base_imNS_24const_host_device_scalarIfEENS9_IdEENS9_IS5_EEb: ; @_ZN9rocsparseL17csrilu0_binsearchILj256ELj64ELb1E21rocsparse_complex_numIfEEEviPKiS4_PT2_S4_PiS4_S7_S7_d21rocsparse_index_base_imNS_24const_host_device_scalarIfEENS9_IdEENS9_IS5_EEb
; %bb.0:
	s_load_dword s3, s[0:1], 0x78
	s_load_dwordx2 s[34:35], s[0:1], 0x50
	s_load_dwordx8 s[24:31], s[0:1], 0x58
	s_waitcnt lgkmcnt(0)
	s_bitcmp1_b32 s3, 0
	s_cselect_b64 s[4:5], -1, 0
	s_cmp_eq_u32 s35, 0
	s_cselect_b64 s[12:13], -1, 0
	s_cmp_lg_u32 s35, 0
	s_cselect_b64 s[8:9], -1, 0
	s_or_b64 s[14:15], s[12:13], s[4:5]
	s_xor_b64 s[6:7], s[14:15], -1
	s_and_b64 s[10:11], s[12:13], exec
	s_cselect_b32 s11, 0, s29
	s_cselect_b32 s10, 0, s28
	s_and_b64 vcc, exec, s[14:15]
	s_cbranch_vccnz .LBB26_2
; %bb.1:
	s_load_dword s3, s[26:27], 0x0
	s_mov_b64 s[10:11], s[28:29]
	s_waitcnt lgkmcnt(0)
	v_mov_b32_e32 v19, s3
	s_andn2_b64 vcc, exec, s[6:7]
	v_mov_b64_e32 v[4:5], s[10:11]
	s_cbranch_vccz .LBB26_3
	s_branch .LBB26_4
.LBB26_2:
	v_mov_b32_e32 v1, s26
	v_cndmask_b32_e64 v19, v1, 0, s[12:13]
	s_andn2_b64 vcc, exec, s[6:7]
	v_mov_b64_e32 v[4:5], s[10:11]
	s_cbranch_vccnz .LBB26_4
.LBB26_3:
	v_mov_b64_e32 v[2:3], s[28:29]
	flat_load_dwordx2 v[4:5], v[2:3]
.LBB26_4:
	v_cndmask_b32_e64 v1, 0, 1, s[8:9]
	s_mov_b32 s33, 0
	v_cmp_ne_u32_e64 s[6:7], 1, v1
	s_andn2_b64 vcc, exec, s[8:9]
	s_mov_b32 s35, 0
	s_cbranch_vccnz .LBB26_10
; %bb.5:
	s_xor_b64 s[8:9], s[4:5], -1
	v_cndmask_b32_e64 v1, 0, 1, s[8:9]
	v_cmp_ne_u32_e64 s[4:5], 1, v1
	s_andn2_b64 vcc, exec, s[8:9]
	s_mov_b32 s33, s30
	s_cbranch_vccnz .LBB26_7
; %bb.6:
	s_load_dword s33, s[30:31], 0x0
.LBB26_7:
	s_and_b64 vcc, exec, s[4:5]
	s_cbranch_vccnz .LBB26_9
; %bb.8:
	s_load_dword s31, s[30:31], 0x4
.LBB26_9:
	s_waitcnt lgkmcnt(0)
	s_mov_b32 s35, s31
.LBB26_10:
	s_load_dword s3, s[0:1], 0x0
	s_lshl_b32 s2, s2, 2
	v_lshrrev_b32_e32 v1, 6, v0
	s_and_b32 s2, s2, 0x3fffffc
	v_or_b32_e32 v1, s2, v1
	s_waitcnt lgkmcnt(0)
	v_cmp_gt_i32_e32 vcc, s3, v1
	s_and_saveexec_b64 s[2:3], vcc
	s_cbranch_execz .LBB26_54
; %bb.11:
	s_load_dwordx16 s[8:23], s[0:1], 0x8
	v_lshlrev_b32_e32 v1, 2, v1
	v_and_b32_e32 v18, 63, v0
	s_waitcnt lgkmcnt(0)
	global_load_dword v2, v1, s[18:19]
	s_waitcnt vmcnt(0)
	v_ashrrev_i32_e32 v3, 31, v2
	v_lshlrev_b64 v[6:7], 2, v[2:3]
	v_lshl_add_u64 v[8:9], s[8:9], 0, v[6:7]
	v_lshl_add_u64 v[10:11], s[14:15], 0, v[6:7]
	global_load_dword v1, v[8:9], off
	global_load_dword v6, v[10:11], off
	s_waitcnt vmcnt(1)
	v_subrev_u32_e32 v0, s34, v1
	s_waitcnt vmcnt(0)
	v_cmp_lt_i32_e32 vcc, v0, v6
	s_and_saveexec_b64 s[4:5], vcc
	s_cbranch_execz .LBB26_30
; %bb.12:
	global_load_dword v1, v[8:9], off offset:4
	v_add_u32_e32 v7, 1, v18
	s_mov_b64 s[18:19], 0
	s_waitcnt vmcnt(0)
	v_xad_u32 v20, s34, -1, v1
	s_branch .LBB26_15
.LBB26_13:                              ;   in Loop: Header=BB26_15 Depth=1
	s_or_b64 exec, exec, s[26:27]
	v_cmp_ge_i32_e32 vcc, v0, v6
	s_orn2_b64 s[26:27], vcc, exec
.LBB26_14:                              ;   in Loop: Header=BB26_15 Depth=1
	s_or_b64 exec, exec, s[2:3]
	s_and_b64 s[2:3], exec, s[26:27]
	s_or_b64 s[18:19], s[2:3], s[18:19]
	s_andn2_b64 exec, exec, s[18:19]
	s_cbranch_execz .LBB26_30
.LBB26_15:                              ; =>This Loop Header: Depth=1
                                        ;     Child Loop BB26_18 Depth 2
                                        ;       Child Loop BB26_19 Depth 3
                                        ;     Child Loop BB26_24 Depth 2
                                        ;       Child Loop BB26_26 Depth 3
	v_ashrrev_i32_e32 v1, 31, v0
	v_lshl_add_u64 v[8:9], v[0:1], 2, s[10:11]
	global_load_dword v12, v[8:9], off
	v_lshl_add_u64 v[10:11], v[0:1], 3, s[12:13]
	global_load_dwordx2 v[8:9], v[10:11], off
	s_waitcnt vmcnt(1)
	v_subrev_u32_e32 v12, s34, v12
	v_ashrrev_i32_e32 v13, 31, v12
	v_lshlrev_b64 v[12:13], 2, v[12:13]
	v_lshl_add_u64 v[16:17], s[8:9], 0, v[12:13]
	v_lshl_add_u64 v[22:23], s[14:15], 0, v[12:13]
	v_lshl_add_u64 v[12:13], s[16:17], 0, v[12:13]
	global_load_dword v1, v[16:17], off offset:4
	global_load_dword v14, v[22:23], off
	global_load_dword v15, v[12:13], off sc1
	s_waitcnt vmcnt(0)
	v_cmp_eq_u32_e32 vcc, 0, v15
	s_and_saveexec_b64 s[2:3], vcc
	s_cbranch_execz .LBB26_20
; %bb.16:                               ;   in Loop: Header=BB26_15 Depth=1
	s_mov_b32 s28, 0
	s_mov_b64 s[26:27], 0
	s_branch .LBB26_18
.LBB26_17:                              ;   in Loop: Header=BB26_18 Depth=2
	global_load_dword v15, v[12:13], off sc1
	s_cmpk_lt_u32 s28, 0xf43
	s_cselect_b64 s[30:31], -1, 0
	s_cmp_lg_u64 s[30:31], 0
	s_addc_u32 s28, s28, 0
	s_waitcnt vmcnt(0)
	v_cmp_ne_u32_e32 vcc, 0, v15
	s_or_b64 s[26:27], vcc, s[26:27]
	s_andn2_b64 exec, exec, s[26:27]
	s_cbranch_execz .LBB26_20
.LBB26_18:                              ;   Parent Loop BB26_15 Depth=1
                                        ; =>  This Loop Header: Depth=2
                                        ;       Child Loop BB26_19 Depth 3
	s_cmp_eq_u32 s28, 0
	s_mov_b32 s29, s28
	s_cbranch_scc1 .LBB26_17
.LBB26_19:                              ;   Parent Loop BB26_15 Depth=1
                                        ;     Parent Loop BB26_18 Depth=2
                                        ; =>    This Inner Loop Header: Depth=3
	s_add_i32 s29, s29, -1
	s_cmp_eq_u32 s29, 0
	s_sleep 1
	s_cbranch_scc0 .LBB26_19
	s_branch .LBB26_17
.LBB26_20:                              ;   in Loop: Header=BB26_15 Depth=1
	s_or_b64 exec, exec, s[2:3]
	v_subrev_u32_e32 v1, s34, v1
	v_add_u32_e32 v12, -1, v1
	v_cmp_eq_u32_e32 vcc, -1, v14
	buffer_inv sc1
	s_mov_b64 s[26:27], -1
	v_cndmask_b32_e32 v12, v14, v12, vcc
	v_ashrrev_i32_e32 v13, 31, v12
	v_lshl_add_u64 v[14:15], v[12:13], 3, s[12:13]
	global_load_dwordx2 v[14:15], v[14:15], off
	s_waitcnt vmcnt(0)
	v_cmp_neq_f32_e32 vcc, 0, v14
	v_cmp_neq_f32_e64 s[2:3], 0, v15
	s_or_b64 s[2:3], vcc, s[2:3]
	s_and_saveexec_b64 s[28:29], s[2:3]
	s_xor_b64 s[2:3], exec, s[28:29]
	s_cbranch_execz .LBB26_14
; %bb.21:                               ;   in Loop: Header=BB26_15 Depth=1
	v_mul_f32_e32 v13, v15, v15
	v_fmac_f32_e32 v13, v14, v14
	v_div_scale_f32 v16, s[26:27], v13, v13, 1.0
	v_rcp_f32_e32 v17, v16
	v_div_scale_f32 v21, vcc, 1.0, v13, 1.0
	v_mov_b32_e32 v24, v15
	v_fma_f32 v22, -v16, v17, 1.0
	v_fmac_f32_e32 v17, v22, v17
	v_mul_f32_e32 v22, v21, v17
	v_fma_f32 v23, -v16, v22, v21
	v_fmac_f32_e32 v22, v23, v17
	v_fma_f32 v16, -v16, v22, v21
	v_div_fmas_f32 v16, v16, v17, v22
	v_xor_b32_e32 v23, 0x80000000, v8
	v_mov_b32_e32 v22, v9
	v_pk_mul_f32 v[22:23], v[22:23], v[24:25] op_sel_hi:[1,0]
	v_div_fixup_f32 v16, v16, v13, 1.0
	v_pk_fma_f32 v[8:9], v[8:9], v[14:15], v[22:23] op_sel_hi:[1,0,1]
	v_add_u32_e32 v0, 1, v0
	v_pk_mul_f32 v[8:9], v[8:9], v[16:17] op_sel_hi:[1,0]
	global_store_dwordx2 v[10:11], v[8:9], off
	v_add_u32_e32 v10, v7, v12
	v_cmp_lt_i32_e32 vcc, v10, v1
	s_and_saveexec_b64 s[26:27], vcc
	s_cbranch_execz .LBB26_13
; %bb.22:                               ;   in Loop: Header=BB26_15 Depth=1
	v_pk_add_f32 v[12:13], v[8:9], 0 neg_lo:[1,1] neg_hi:[1,1]
	s_mov_b64 s[28:29], 0
	v_pk_mov_b32 v[12:13], v[8:9], v[12:13] op_sel:[1,0]
	v_mov_b32_e32 v14, v0
	s_branch .LBB26_24
.LBB26_23:                              ;   in Loop: Header=BB26_24 Depth=2
	s_or_b64 exec, exec, s[30:31]
	v_add_u32_e32 v10, 64, v10
	v_cmp_ge_i32_e32 vcc, v10, v1
	s_or_b64 s[28:29], vcc, s[28:29]
	s_andn2_b64 exec, exec, s[28:29]
	s_cbranch_execz .LBB26_13
.LBB26_24:                              ;   Parent Loop BB26_15 Depth=1
                                        ; =>  This Loop Header: Depth=2
                                        ;       Child Loop BB26_26 Depth 3
	v_add_u32_e32 v15, v14, v20
	v_ashrrev_i32_e32 v11, 31, v10
	v_ashrrev_i32_e32 v16, 1, v15
	v_lshl_add_u64 v[22:23], v[10:11], 2, s[10:11]
	v_ashrrev_i32_e32 v17, 31, v16
	v_lshl_add_u64 v[24:25], v[16:17], 2, s[10:11]
	global_load_dword v15, v[22:23], off
	global_load_dword v17, v[24:25], off
	v_cmp_lt_i32_e32 vcc, v14, v20
	s_and_saveexec_b64 s[30:31], vcc
	s_cbranch_execz .LBB26_28
; %bb.25:                               ;   in Loop: Header=BB26_24 Depth=2
	s_mov_b64 s[36:37], 0
	v_mov_b32_e32 v21, v20
.LBB26_26:                              ;   Parent Loop BB26_15 Depth=1
                                        ;     Parent Loop BB26_24 Depth=2
                                        ; =>    This Inner Loop Header: Depth=3
	v_add_u32_e32 v22, 1, v16
	s_waitcnt vmcnt(0)
	v_cmp_lt_i32_e32 vcc, v17, v15
	s_nop 1
	v_cndmask_b32_e32 v21, v16, v21, vcc
	v_cndmask_b32_e32 v14, v14, v22, vcc
	v_add_u32_e32 v16, v21, v14
	v_ashrrev_i32_e32 v16, 1, v16
	v_ashrrev_i32_e32 v17, 31, v16
	v_lshl_add_u64 v[22:23], v[16:17], 2, s[10:11]
	global_load_dword v17, v[22:23], off
	v_cmp_ge_i32_e32 vcc, v14, v21
	s_or_b64 s[36:37], vcc, s[36:37]
	s_andn2_b64 exec, exec, s[36:37]
	s_cbranch_execnz .LBB26_26
; %bb.27:                               ;   in Loop: Header=BB26_24 Depth=2
	s_or_b64 exec, exec, s[36:37]
.LBB26_28:                              ;   in Loop: Header=BB26_24 Depth=2
	s_or_b64 exec, exec, s[30:31]
	s_waitcnt vmcnt(0)
	v_cmp_eq_u32_e32 vcc, v17, v15
	s_and_saveexec_b64 s[30:31], vcc
	s_cbranch_execz .LBB26_23
; %bb.29:                               ;   in Loop: Header=BB26_24 Depth=2
	v_lshl_add_u64 v[16:17], v[10:11], 3, s[12:13]
	v_ashrrev_i32_e32 v15, 31, v14
	v_lshl_add_u64 v[22:23], v[14:15], 3, s[12:13]
	global_load_dwordx2 v[24:25], v[16:17], off
	global_load_dwordx2 v[26:27], v[22:23], off
	s_waitcnt vmcnt(0)
	v_pk_fma_f32 v[16:17], v[8:9], v[24:25], v[26:27] op_sel_hi:[1,0,1] neg_lo:[1,0,0] neg_hi:[1,0,0]
	s_nop 0
	v_pk_fma_f32 v[16:17], v[12:13], v[24:25], v[16:17] op_sel:[0,1,0]
	global_store_dwordx2 v[22:23], v[16:17], off
	s_branch .LBB26_23
.LBB26_30:
	s_or_b64 exec, exec, s[4:5]
	v_cmp_lt_i32_e32 vcc, -1, v6
	s_and_saveexec_b64 s[8:9], vcc
	s_cbranch_execz .LBB26_52
; %bb.31:
	v_mov_b32_e32 v7, 0
	v_lshl_add_u64 v[8:9], v[6:7], 3, s[12:13]
	global_load_dwordx2 v[0:1], v[8:9], off
	s_waitcnt vmcnt(0)
	v_cmp_gt_f32_e32 vcc, 0, v0
	s_nop 1
	v_cndmask_b32_e64 v6, v0, -v0, vcc
	v_cmp_gt_f32_e32 vcc, 0, v1
	s_nop 1
	v_cndmask_b32_e64 v10, v1, -v1, vcc
	v_cmp_ngt_f32_e32 vcc, v6, v10
	s_and_saveexec_b64 s[2:3], vcc
	s_xor_b64 s[4:5], exec, s[2:3]
	s_cbranch_execz .LBB26_35
; %bb.32:
	v_cmp_neq_f32_e32 vcc, 0, v1
	s_and_saveexec_b64 s[10:11], vcc
	s_cbranch_execz .LBB26_34
; %bb.33:
	v_div_scale_f32 v7, s[2:3], v10, v10, v6
	v_rcp_f32_e32 v11, v7
	v_div_scale_f32 v12, vcc, v6, v10, v6
	s_mov_b32 s2, 0xf800000
	v_fma_f32 v13, -v7, v11, 1.0
	v_fmac_f32_e32 v11, v13, v11
	v_mul_f32_e32 v13, v12, v11
	v_fma_f32 v14, -v7, v13, v12
	v_fmac_f32_e32 v13, v14, v11
	v_fma_f32 v7, -v7, v13, v12
	v_div_fmas_f32 v7, v7, v11, v13
	v_div_fixup_f32 v6, v7, v10, v6
	v_fma_f32 v6, v6, v6, 1.0
	v_mul_f32_e32 v7, 0x4f800000, v6
	v_cmp_gt_f32_e32 vcc, s2, v6
	s_nop 1
	v_cndmask_b32_e32 v6, v6, v7, vcc
	v_sqrt_f32_e32 v7, v6
	s_nop 0
	v_add_u32_e32 v11, -1, v7
	v_fma_f32 v12, -v11, v7, v6
	v_cmp_ge_f32_e64 s[2:3], 0, v12
	v_add_u32_e32 v12, 1, v7
	s_nop 0
	v_cndmask_b32_e64 v11, v7, v11, s[2:3]
	v_fma_f32 v7, -v12, v7, v6
	v_cmp_lt_f32_e64 s[2:3], 0, v7
	s_nop 1
	v_cndmask_b32_e64 v7, v11, v12, s[2:3]
	v_mul_f32_e32 v11, 0x37800000, v7
	v_cndmask_b32_e32 v7, v7, v11, vcc
	v_mov_b32_e32 v11, 0x260
	v_cmp_class_f32_e32 vcc, v6, v11
	s_nop 1
	v_cndmask_b32_e32 v6, v7, v6, vcc
	v_mul_f32_e32 v7, v10, v6
.LBB26_34:
	s_or_b64 exec, exec, s[10:11]
                                        ; implicit-def: $vgpr6
                                        ; implicit-def: $vgpr10
.LBB26_35:
	s_andn2_saveexec_b64 s[4:5], s[4:5]
	s_cbranch_execz .LBB26_37
; %bb.36:
	v_div_scale_f32 v7, s[2:3], v6, v6, v10
	v_rcp_f32_e32 v11, v7
	v_div_scale_f32 v12, vcc, v10, v6, v10
	s_mov_b32 s2, 0xf800000
	v_fma_f32 v13, -v7, v11, 1.0
	v_fmac_f32_e32 v11, v13, v11
	v_mul_f32_e32 v13, v12, v11
	v_fma_f32 v14, -v7, v13, v12
	v_fmac_f32_e32 v13, v14, v11
	v_fma_f32 v7, -v7, v13, v12
	v_div_fmas_f32 v7, v7, v11, v13
	v_div_fixup_f32 v7, v7, v6, v10
	v_fma_f32 v7, v7, v7, 1.0
	v_mul_f32_e32 v10, 0x4f800000, v7
	v_cmp_gt_f32_e32 vcc, s2, v7
	s_nop 1
	v_cndmask_b32_e32 v7, v7, v10, vcc
	v_sqrt_f32_e32 v10, v7
	s_nop 0
	v_add_u32_e32 v11, -1, v10
	v_fma_f32 v12, -v11, v10, v7
	v_cmp_ge_f32_e64 s[2:3], 0, v12
	v_add_u32_e32 v12, 1, v10
	s_nop 0
	v_cndmask_b32_e64 v11, v10, v11, s[2:3]
	v_fma_f32 v10, -v12, v10, v7
	v_cmp_lt_f32_e64 s[2:3], 0, v10
	s_nop 1
	v_cndmask_b32_e64 v10, v11, v12, s[2:3]
	v_mul_f32_e32 v11, 0x37800000, v10
	v_cndmask_b32_e32 v10, v10, v11, vcc
	v_mov_b32_e32 v11, 0x260
	v_cmp_class_f32_e32 vcc, v7, v11
	s_nop 1
	v_cndmask_b32_e32 v7, v10, v7, vcc
	v_mul_f32_e32 v7, v6, v7
.LBB26_37:
	s_or_b64 exec, exec, s[4:5]
	v_cvt_f64_f32_e32 v[6:7], v7
	v_cmp_eq_u32_e64 s[4:5], 0, v18
	s_and_b64 vcc, exec, s[6:7]
	s_mov_b64 s[2:3], -1
	s_cbranch_vccnz .LBB26_41
; %bb.38:
	s_cmp_eq_u64 s[24:25], 8
	v_cvt_f64_f32_e32 v[10:11], v19
	s_cselect_b64 vcc, -1, 0
	v_cndmask_b32_e32 v5, v11, v5, vcc
	v_cndmask_b32_e32 v4, v10, v4, vcc
	v_cmp_ge_f64_e32 vcc, v[4:5], v[6:7]
	s_and_b64 s[6:7], s[4:5], vcc
	s_and_saveexec_b64 s[2:3], s[6:7]
	s_cbranch_execz .LBB26_40
; %bb.39:
	v_mov_b32_e32 v4, s33
	v_mov_b32_e32 v5, s35
	global_store_dwordx2 v[8:9], v[4:5], off
.LBB26_40:
	s_or_b64 exec, exec, s[2:3]
	s_mov_b64 s[2:3], 0
.LBB26_41:
	s_andn2_b64 vcc, exec, s[2:3]
	s_cbranch_vccnz .LBB26_52
; %bb.42:
	s_load_dwordx2 s[0:1], s[0:1], 0x48
	v_add_u32_e32 v4, s34, v2
	s_waitcnt lgkmcnt(0)
	v_cmp_ge_f64_e32 vcc, s[0:1], v[6:7]
	s_and_b64 s[2:3], s[4:5], vcc
	s_and_saveexec_b64 s[0:1], s[2:3]
	s_cbranch_execz .LBB26_47
; %bb.43:
	s_mov_b64 s[2:3], exec
	s_brev_b32 s6, -2
.LBB26_44:                              ; =>This Inner Loop Header: Depth=1
	s_ff1_i32_b64 s7, s[2:3]
	v_readlane_b32 s12, v4, s7
	s_lshl_b64 s[10:11], 1, s7
	s_min_i32 s6, s6, s12
	s_andn2_b64 s[2:3], s[2:3], s[10:11]
	s_cmp_lg_u64 s[2:3], 0
	s_cbranch_scc1 .LBB26_44
; %bb.45:
	v_mbcnt_lo_u32_b32 v5, exec_lo, 0
	v_mbcnt_hi_u32_b32 v5, exec_hi, v5
	v_cmp_eq_u32_e32 vcc, 0, v5
	s_and_saveexec_b64 s[2:3], vcc
	s_xor_b64 s[2:3], exec, s[2:3]
	s_cbranch_execz .LBB26_47
; %bb.46:
	v_mov_b32_e32 v5, 0
	v_mov_b32_e32 v6, s6
	global_atomic_smin v5, v6, s[22:23]
.LBB26_47:
	s_or_b64 exec, exec, s[0:1]
	v_cmp_eq_f32_e32 vcc, 0, v0
	v_cmp_eq_f32_e64 s[0:1], 0, v1
	s_and_b64 s[0:1], vcc, s[0:1]
	s_and_b64 s[0:1], s[4:5], s[0:1]
	s_and_b64 exec, exec, s[0:1]
	s_cbranch_execz .LBB26_52
; %bb.48:
	s_mov_b64 s[0:1], exec
	s_brev_b32 s2, -2
.LBB26_49:                              ; =>This Inner Loop Header: Depth=1
	s_ff1_i32_b64 s3, s[0:1]
	v_readlane_b32 s6, v4, s3
	s_lshl_b64 s[4:5], 1, s3
	s_min_i32 s2, s2, s6
	s_andn2_b64 s[0:1], s[0:1], s[4:5]
	s_cmp_lg_u64 s[0:1], 0
	s_cbranch_scc1 .LBB26_49
; %bb.50:
	v_mbcnt_lo_u32_b32 v0, exec_lo, 0
	v_mbcnt_hi_u32_b32 v0, exec_hi, v0
	v_cmp_eq_u32_e32 vcc, 0, v0
	s_and_saveexec_b64 s[0:1], vcc
	s_xor_b64 s[0:1], exec, s[0:1]
	s_cbranch_execz .LBB26_52
; %bb.51:
	v_mov_b32_e32 v0, 0
	v_mov_b32_e32 v1, s2
	global_atomic_smin v0, v1, s[20:21]
.LBB26_52:
	s_or_b64 exec, exec, s[8:9]
	v_cmp_eq_u32_e32 vcc, 0, v18
	buffer_wbl2 sc1
	s_waitcnt vmcnt(0)
	buffer_inv sc1
	s_and_b64 exec, exec, vcc
	s_cbranch_execz .LBB26_54
; %bb.53:
	v_lshl_add_u64 v[0:1], v[2:3], 2, s[16:17]
	v_mov_b32_e32 v2, 1
	buffer_wbl2 sc1
	global_store_dword v[0:1], v2, off sc1
.LBB26_54:
	s_endpgm
	.section	.rodata,"a",@progbits
	.p2align	6, 0x0
	.amdhsa_kernel _ZN9rocsparseL17csrilu0_binsearchILj256ELj64ELb1E21rocsparse_complex_numIfEEEviPKiS4_PT2_S4_PiS4_S7_S7_d21rocsparse_index_base_imNS_24const_host_device_scalarIfEENS9_IdEENS9_IS5_EEb
		.amdhsa_group_segment_fixed_size 0
		.amdhsa_private_segment_fixed_size 0
		.amdhsa_kernarg_size 124
		.amdhsa_user_sgpr_count 2
		.amdhsa_user_sgpr_dispatch_ptr 0
		.amdhsa_user_sgpr_queue_ptr 0
		.amdhsa_user_sgpr_kernarg_segment_ptr 1
		.amdhsa_user_sgpr_dispatch_id 0
		.amdhsa_user_sgpr_kernarg_preload_length 0
		.amdhsa_user_sgpr_kernarg_preload_offset 0
		.amdhsa_user_sgpr_private_segment_size 0
		.amdhsa_uses_dynamic_stack 0
		.amdhsa_enable_private_segment 0
		.amdhsa_system_sgpr_workgroup_id_x 1
		.amdhsa_system_sgpr_workgroup_id_y 0
		.amdhsa_system_sgpr_workgroup_id_z 0
		.amdhsa_system_sgpr_workgroup_info 0
		.amdhsa_system_vgpr_workitem_id 0
		.amdhsa_next_free_vgpr 28
		.amdhsa_next_free_sgpr 38
		.amdhsa_accum_offset 28
		.amdhsa_reserve_vcc 1
		.amdhsa_float_round_mode_32 0
		.amdhsa_float_round_mode_16_64 0
		.amdhsa_float_denorm_mode_32 3
		.amdhsa_float_denorm_mode_16_64 3
		.amdhsa_dx10_clamp 1
		.amdhsa_ieee_mode 1
		.amdhsa_fp16_overflow 0
		.amdhsa_tg_split 0
		.amdhsa_exception_fp_ieee_invalid_op 0
		.amdhsa_exception_fp_denorm_src 0
		.amdhsa_exception_fp_ieee_div_zero 0
		.amdhsa_exception_fp_ieee_overflow 0
		.amdhsa_exception_fp_ieee_underflow 0
		.amdhsa_exception_fp_ieee_inexact 0
		.amdhsa_exception_int_div_zero 0
	.end_amdhsa_kernel
	.section	.text._ZN9rocsparseL17csrilu0_binsearchILj256ELj64ELb1E21rocsparse_complex_numIfEEEviPKiS4_PT2_S4_PiS4_S7_S7_d21rocsparse_index_base_imNS_24const_host_device_scalarIfEENS9_IdEENS9_IS5_EEb,"axG",@progbits,_ZN9rocsparseL17csrilu0_binsearchILj256ELj64ELb1E21rocsparse_complex_numIfEEEviPKiS4_PT2_S4_PiS4_S7_S7_d21rocsparse_index_base_imNS_24const_host_device_scalarIfEENS9_IdEENS9_IS5_EEb,comdat
.Lfunc_end26:
	.size	_ZN9rocsparseL17csrilu0_binsearchILj256ELj64ELb1E21rocsparse_complex_numIfEEEviPKiS4_PT2_S4_PiS4_S7_S7_d21rocsparse_index_base_imNS_24const_host_device_scalarIfEENS9_IdEENS9_IS5_EEb, .Lfunc_end26-_ZN9rocsparseL17csrilu0_binsearchILj256ELj64ELb1E21rocsparse_complex_numIfEEEviPKiS4_PT2_S4_PiS4_S7_S7_d21rocsparse_index_base_imNS_24const_host_device_scalarIfEENS9_IdEENS9_IS5_EEb
                                        ; -- End function
	.set _ZN9rocsparseL17csrilu0_binsearchILj256ELj64ELb1E21rocsparse_complex_numIfEEEviPKiS4_PT2_S4_PiS4_S7_S7_d21rocsparse_index_base_imNS_24const_host_device_scalarIfEENS9_IdEENS9_IS5_EEb.num_vgpr, 28
	.set _ZN9rocsparseL17csrilu0_binsearchILj256ELj64ELb1E21rocsparse_complex_numIfEEEviPKiS4_PT2_S4_PiS4_S7_S7_d21rocsparse_index_base_imNS_24const_host_device_scalarIfEENS9_IdEENS9_IS5_EEb.num_agpr, 0
	.set _ZN9rocsparseL17csrilu0_binsearchILj256ELj64ELb1E21rocsparse_complex_numIfEEEviPKiS4_PT2_S4_PiS4_S7_S7_d21rocsparse_index_base_imNS_24const_host_device_scalarIfEENS9_IdEENS9_IS5_EEb.numbered_sgpr, 38
	.set _ZN9rocsparseL17csrilu0_binsearchILj256ELj64ELb1E21rocsparse_complex_numIfEEEviPKiS4_PT2_S4_PiS4_S7_S7_d21rocsparse_index_base_imNS_24const_host_device_scalarIfEENS9_IdEENS9_IS5_EEb.num_named_barrier, 0
	.set _ZN9rocsparseL17csrilu0_binsearchILj256ELj64ELb1E21rocsparse_complex_numIfEEEviPKiS4_PT2_S4_PiS4_S7_S7_d21rocsparse_index_base_imNS_24const_host_device_scalarIfEENS9_IdEENS9_IS5_EEb.private_seg_size, 0
	.set _ZN9rocsparseL17csrilu0_binsearchILj256ELj64ELb1E21rocsparse_complex_numIfEEEviPKiS4_PT2_S4_PiS4_S7_S7_d21rocsparse_index_base_imNS_24const_host_device_scalarIfEENS9_IdEENS9_IS5_EEb.uses_vcc, 1
	.set _ZN9rocsparseL17csrilu0_binsearchILj256ELj64ELb1E21rocsparse_complex_numIfEEEviPKiS4_PT2_S4_PiS4_S7_S7_d21rocsparse_index_base_imNS_24const_host_device_scalarIfEENS9_IdEENS9_IS5_EEb.uses_flat_scratch, 0
	.set _ZN9rocsparseL17csrilu0_binsearchILj256ELj64ELb1E21rocsparse_complex_numIfEEEviPKiS4_PT2_S4_PiS4_S7_S7_d21rocsparse_index_base_imNS_24const_host_device_scalarIfEENS9_IdEENS9_IS5_EEb.has_dyn_sized_stack, 0
	.set _ZN9rocsparseL17csrilu0_binsearchILj256ELj64ELb1E21rocsparse_complex_numIfEEEviPKiS4_PT2_S4_PiS4_S7_S7_d21rocsparse_index_base_imNS_24const_host_device_scalarIfEENS9_IdEENS9_IS5_EEb.has_recursion, 0
	.set _ZN9rocsparseL17csrilu0_binsearchILj256ELj64ELb1E21rocsparse_complex_numIfEEEviPKiS4_PT2_S4_PiS4_S7_S7_d21rocsparse_index_base_imNS_24const_host_device_scalarIfEENS9_IdEENS9_IS5_EEb.has_indirect_call, 0
	.section	.AMDGPU.csdata,"",@progbits
; Kernel info:
; codeLenInByte = 2128
; TotalNumSgprs: 44
; NumVgprs: 28
; NumAgprs: 0
; TotalNumVgprs: 28
; ScratchSize: 0
; MemoryBound: 0
; FloatMode: 240
; IeeeMode: 1
; LDSByteSize: 0 bytes/workgroup (compile time only)
; SGPRBlocks: 5
; VGPRBlocks: 3
; NumSGPRsForWavesPerEU: 44
; NumVGPRsForWavesPerEU: 28
; AccumOffset: 28
; Occupancy: 8
; WaveLimiterHint : 1
; COMPUTE_PGM_RSRC2:SCRATCH_EN: 0
; COMPUTE_PGM_RSRC2:USER_SGPR: 2
; COMPUTE_PGM_RSRC2:TRAP_HANDLER: 0
; COMPUTE_PGM_RSRC2:TGID_X_EN: 1
; COMPUTE_PGM_RSRC2:TGID_Y_EN: 0
; COMPUTE_PGM_RSRC2:TGID_Z_EN: 0
; COMPUTE_PGM_RSRC2:TIDIG_COMP_CNT: 0
; COMPUTE_PGM_RSRC3_GFX90A:ACCUM_OFFSET: 6
; COMPUTE_PGM_RSRC3_GFX90A:TG_SPLIT: 0
	.section	.text._ZN9rocsparseL12csrilu0_hashILj256ELj32ELj1E21rocsparse_complex_numIfEEEviPKiS4_PT2_S4_PiS4_S7_S7_d21rocsparse_index_base_imNS_24const_host_device_scalarIfEENS9_IdEENS9_IS5_EEb,"axG",@progbits,_ZN9rocsparseL12csrilu0_hashILj256ELj32ELj1E21rocsparse_complex_numIfEEEviPKiS4_PT2_S4_PiS4_S7_S7_d21rocsparse_index_base_imNS_24const_host_device_scalarIfEENS9_IdEENS9_IS5_EEb,comdat
	.globl	_ZN9rocsparseL12csrilu0_hashILj256ELj32ELj1E21rocsparse_complex_numIfEEEviPKiS4_PT2_S4_PiS4_S7_S7_d21rocsparse_index_base_imNS_24const_host_device_scalarIfEENS9_IdEENS9_IS5_EEb ; -- Begin function _ZN9rocsparseL12csrilu0_hashILj256ELj32ELj1E21rocsparse_complex_numIfEEEviPKiS4_PT2_S4_PiS4_S7_S7_d21rocsparse_index_base_imNS_24const_host_device_scalarIfEENS9_IdEENS9_IS5_EEb
	.p2align	8
	.type	_ZN9rocsparseL12csrilu0_hashILj256ELj32ELj1E21rocsparse_complex_numIfEEEviPKiS4_PT2_S4_PiS4_S7_S7_d21rocsparse_index_base_imNS_24const_host_device_scalarIfEENS9_IdEENS9_IS5_EEb,@function
_ZN9rocsparseL12csrilu0_hashILj256ELj32ELj1E21rocsparse_complex_numIfEEEviPKiS4_PT2_S4_PiS4_S7_S7_d21rocsparse_index_base_imNS_24const_host_device_scalarIfEENS9_IdEENS9_IS5_EEb: ; @_ZN9rocsparseL12csrilu0_hashILj256ELj32ELj1E21rocsparse_complex_numIfEEEviPKiS4_PT2_S4_PiS4_S7_S7_d21rocsparse_index_base_imNS_24const_host_device_scalarIfEENS9_IdEENS9_IS5_EEb
; %bb.0:
	s_load_dword s3, s[0:1], 0x78
	s_load_dwordx2 s[34:35], s[0:1], 0x50
	s_load_dwordx8 s[24:31], s[0:1], 0x58
	s_waitcnt lgkmcnt(0)
	s_bitcmp1_b32 s3, 0
	s_cselect_b64 s[4:5], -1, 0
	s_cmp_eq_u32 s35, 0
	s_cselect_b64 s[12:13], -1, 0
	s_cmp_lg_u32 s35, 0
	s_cselect_b64 s[8:9], -1, 0
	s_or_b64 s[14:15], s[12:13], s[4:5]
	s_xor_b64 s[6:7], s[14:15], -1
	s_and_b64 s[10:11], s[12:13], exec
	s_cselect_b32 s11, 0, s29
	s_cselect_b32 s10, 0, s28
	s_and_b64 vcc, exec, s[14:15]
	s_cbranch_vccnz .LBB27_2
; %bb.1:
	s_load_dword s3, s[26:27], 0x0
	s_mov_b64 s[10:11], s[28:29]
	s_waitcnt lgkmcnt(0)
	v_mov_b32_e32 v17, s3
	s_andn2_b64 vcc, exec, s[6:7]
	v_mov_b64_e32 v[2:3], s[10:11]
	s_cbranch_vccz .LBB27_3
	s_branch .LBB27_4
.LBB27_2:
	v_mov_b32_e32 v1, s26
	v_cndmask_b32_e64 v17, v1, 0, s[12:13]
	s_andn2_b64 vcc, exec, s[6:7]
	v_mov_b64_e32 v[2:3], s[10:11]
	s_cbranch_vccnz .LBB27_4
.LBB27_3:
	v_mov_b64_e32 v[2:3], s[28:29]
	flat_load_dwordx2 v[2:3], v[2:3]
.LBB27_4:
	v_cndmask_b32_e64 v1, 0, 1, s[8:9]
	s_mov_b32 s33, 0
	v_cmp_ne_u32_e64 s[6:7], 1, v1
	s_andn2_b64 vcc, exec, s[8:9]
	s_mov_b32 s35, 0
	s_cbranch_vccnz .LBB27_10
; %bb.5:
	s_xor_b64 s[8:9], s[4:5], -1
	v_cndmask_b32_e64 v1, 0, 1, s[8:9]
	v_cmp_ne_u32_e64 s[4:5], 1, v1
	s_andn2_b64 vcc, exec, s[8:9]
	s_mov_b32 s33, s30
	s_cbranch_vccnz .LBB27_7
; %bb.6:
	s_load_dword s33, s[30:31], 0x0
.LBB27_7:
	s_and_b64 vcc, exec, s[4:5]
	s_cbranch_vccnz .LBB27_9
; %bb.8:
	s_load_dword s31, s[30:31], 0x4
.LBB27_9:
	s_waitcnt lgkmcnt(0)
	s_mov_b32 s35, s31
.LBB27_10:
	s_load_dword s3, s[0:1], 0x0
	s_lshl_b32 s2, s2, 3
	v_and_b32_e32 v16, 31, v0
	v_and_b32_e32 v6, 0xe0, v0
	v_mov_b32_e32 v1, 0x400
	v_lshrrev_b32_e32 v0, 5, v0
	s_and_b32 s2, s2, 0x7fffff8
	v_lshl_or_b32 v5, v6, 2, v1
	v_or_b32_e32 v0, s2, v0
	v_lshl_or_b32 v1, v16, 2, v5
	v_mov_b32_e32 v4, -1
	s_waitcnt lgkmcnt(0)
	v_cmp_gt_i32_e32 vcc, s3, v0
	ds_write_b32 v1, v4
	s_waitcnt lgkmcnt(0)
	s_and_saveexec_b64 s[2:3], vcc
	s_cbranch_execz .LBB27_88
; %bb.11:
	s_load_dwordx16 s[8:23], s[0:1], 0x8
	v_lshlrev_b32_e32 v0, 2, v0
	v_lshlrev_b32_e32 v18, 2, v6
	s_waitcnt lgkmcnt(0)
	global_load_dword v0, v0, s[18:19]
	s_waitcnt vmcnt(0)
	v_ashrrev_i32_e32 v1, 31, v0
	v_lshlrev_b64 v[8:9], 2, v[0:1]
	v_lshl_add_u64 v[10:11], s[8:9], 0, v[8:9]
	global_load_dwordx2 v[10:11], v[10:11], off
	v_lshl_add_u64 v[8:9], s[14:15], 0, v[8:9]
	global_load_dword v4, v[8:9], off
	s_waitcnt vmcnt(1)
	v_subrev_u32_e32 v6, s34, v10
	v_subrev_u32_e32 v7, s34, v11
	v_add_u32_e32 v8, v6, v16
	v_cmp_lt_i32_e32 vcc, v8, v7
	s_and_saveexec_b64 s[2:3], vcc
	s_cbranch_execz .LBB27_34
; %bb.12:
	s_mov_b64 s[4:5], 0
	v_mov_b32_e32 v10, -1
	s_branch .LBB27_14
.LBB27_13:                              ;   in Loop: Header=BB27_14 Depth=1
	s_or_b64 exec, exec, s[18:19]
	v_add_u32_e32 v8, 32, v8
	v_cmp_ge_i32_e32 vcc, v8, v7
	s_or_b64 s[4:5], vcc, s[4:5]
	s_andn2_b64 exec, exec, s[4:5]
	s_cbranch_execz .LBB27_34
.LBB27_14:                              ; =>This Loop Header: Depth=1
                                        ;     Child Loop BB27_23 Depth 2
	v_ashrrev_i32_e32 v9, 31, v8
	v_lshl_add_u64 v[12:13], v[8:9], 2, s[10:11]
	global_load_dword v9, v[12:13], off
	v_mov_b32_e32 v11, 32
	s_mov_b64 s[26:27], 0
                                        ; implicit-def: $sgpr18_sgpr19
                                        ; implicit-def: $sgpr28_sgpr29
                                        ; implicit-def: $sgpr30_sgpr31
	s_waitcnt vmcnt(0)
	v_mul_lo_u32 v13, v9, 7
	s_branch .LBB27_23
.LBB27_15:                              ;   in Loop: Header=BB27_23 Depth=2
	s_or_b64 exec, exec, s[54:55]
	s_orn2_b64 s[50:51], s[50:51], exec
	s_orn2_b64 s[52:53], s[52:53], exec
.LBB27_16:                              ;   in Loop: Header=BB27_23 Depth=2
	s_or_b64 exec, exec, s[48:49]
	s_and_b64 s[50:51], s[50:51], exec
	s_orn2_b64 s[48:49], s[52:53], exec
.LBB27_17:                              ;   in Loop: Header=BB27_23 Depth=2
	s_or_b64 exec, exec, s[46:47]
	s_orn2_b64 s[50:51], s[50:51], exec
	s_orn2_b64 s[46:47], s[48:49], exec
.LBB27_18:                              ;   in Loop: Header=BB27_23 Depth=2
	s_or_b64 exec, exec, s[44:45]
	s_and_b64 s[48:49], s[50:51], exec
	s_orn2_b64 s[44:45], s[46:47], exec
.LBB27_19:                              ;   in Loop: Header=BB27_23 Depth=2
	s_or_b64 exec, exec, s[42:43]
	s_orn2_b64 s[42:43], s[48:49], exec
	s_orn2_b64 s[44:45], s[44:45], exec
.LBB27_20:                              ;   in Loop: Header=BB27_23 Depth=2
	s_or_b64 exec, exec, s[40:41]
	s_and_b64 s[42:43], s[42:43], exec
	s_orn2_b64 s[40:41], s[44:45], exec
.LBB27_21:                              ;   in Loop: Header=BB27_23 Depth=2
	s_or_b64 exec, exec, s[38:39]
	s_andn2_b64 s[30:31], s[30:31], exec
	s_and_b64 s[38:39], s[42:43], exec
	s_or_b64 s[30:31], s[30:31], s[38:39]
	s_andn2_b64 s[28:29], s[28:29], exec
	s_and_b64 s[38:39], s[40:41], exec
	s_or_b64 s[28:29], s[28:29], s[38:39]
.LBB27_22:                              ;   in Loop: Header=BB27_23 Depth=2
	s_or_b64 exec, exec, s[36:37]
	s_and_b64 s[36:37], exec, s[28:29]
	s_or_b64 s[26:27], s[36:37], s[26:27]
	s_andn2_b64 s[18:19], s[18:19], exec
	s_and_b64 s[36:37], s[30:31], exec
	s_or_b64 s[18:19], s[18:19], s[36:37]
	s_andn2_b64 exec, exec, s[26:27]
	s_cbranch_execz .LBB27_32
.LBB27_23:                              ;   Parent Loop BB27_14 Depth=1
                                        ; =>  This Inner Loop Header: Depth=2
	v_and_b32_e32 v12, 31, v13
	v_lshl_add_u32 v14, v12, 2, v5
	ds_read_b32 v15, v14
	s_or_b64 s[30:31], s[30:31], exec
	s_or_b64 s[28:29], s[28:29], exec
	s_waitcnt lgkmcnt(0)
	v_cmp_ne_u32_e32 vcc, v15, v9
	s_and_saveexec_b64 s[36:37], vcc
	s_cbranch_execz .LBB27_22
; %bb.24:                               ;   in Loop: Header=BB27_23 Depth=2
	ds_cmpst_rtn_b32 v14, v14, v10, v9
	s_mov_b64 s[40:41], -1
	s_mov_b64 s[42:43], 0
	s_waitcnt lgkmcnt(0)
	v_cmp_ne_u32_e32 vcc, -1, v14
	s_and_saveexec_b64 s[38:39], vcc
	s_cbranch_execz .LBB27_21
; %bb.25:                               ;   in Loop: Header=BB27_23 Depth=2
	v_add_u32_e32 v12, 1, v13
	v_and_b32_e32 v12, 31, v12
	v_lshl_add_u32 v14, v12, 2, v5
	ds_read_b32 v15, v14
	s_mov_b64 s[44:45], -1
	s_mov_b64 s[42:43], -1
	s_waitcnt lgkmcnt(0)
	v_cmp_ne_u32_e32 vcc, v15, v9
	s_and_saveexec_b64 s[40:41], vcc
	s_cbranch_execz .LBB27_20
; %bb.26:                               ;   in Loop: Header=BB27_23 Depth=2
	ds_cmpst_rtn_b32 v14, v14, v10, v9
	s_mov_b64 s[48:49], 0
	s_waitcnt lgkmcnt(0)
	v_cmp_ne_u32_e32 vcc, -1, v14
	s_and_saveexec_b64 s[42:43], vcc
	s_cbranch_execz .LBB27_19
; %bb.27:                               ;   in Loop: Header=BB27_23 Depth=2
	v_add_u32_e32 v12, 2, v13
	v_and_b32_e32 v12, 31, v12
	v_lshl_add_u32 v14, v12, 2, v5
	ds_read_b32 v15, v14
	s_mov_b64 s[46:47], -1
	s_mov_b64 s[50:51], -1
	s_waitcnt lgkmcnt(0)
	v_cmp_ne_u32_e32 vcc, v15, v9
	s_and_saveexec_b64 s[44:45], vcc
	s_cbranch_execz .LBB27_18
; %bb.28:                               ;   in Loop: Header=BB27_23 Depth=2
	ds_cmpst_rtn_b32 v14, v14, v10, v9
	s_mov_b64 s[48:49], -1
	s_mov_b64 s[50:51], 0
	s_waitcnt lgkmcnt(0)
	v_cmp_ne_u32_e32 vcc, -1, v14
	s_and_saveexec_b64 s[46:47], vcc
	s_cbranch_execz .LBB27_17
; %bb.29:                               ;   in Loop: Header=BB27_23 Depth=2
	v_add_u32_e32 v12, 3, v13
	v_and_b32_e32 v12, 31, v12
	v_lshl_add_u32 v14, v12, 2, v5
	ds_read_b32 v13, v14
	s_mov_b64 s[52:53], -1
	s_mov_b64 s[50:51], -1
	s_waitcnt lgkmcnt(0)
	v_cmp_ne_u32_e32 vcc, v13, v9
                                        ; implicit-def: $vgpr13
	s_and_saveexec_b64 s[48:49], vcc
	s_cbranch_execz .LBB27_16
; %bb.30:                               ;   in Loop: Header=BB27_23 Depth=2
	ds_cmpst_rtn_b32 v13, v14, v10, v9
	s_mov_b64 s[50:51], 0
	s_waitcnt lgkmcnt(0)
	v_cmp_ne_u32_e32 vcc, -1, v13
                                        ; implicit-def: $vgpr13
	s_and_saveexec_b64 s[54:55], vcc
	s_cbranch_execz .LBB27_15
; %bb.31:                               ;   in Loop: Header=BB27_23 Depth=2
	v_add_u32_e32 v11, -4, v11
	v_cmp_eq_u32_e32 vcc, 0, v11
	s_mov_b64 s[50:51], exec
	v_add_u32_e32 v13, 1, v12
	s_orn2_b64 s[52:53], vcc, exec
	s_branch .LBB27_15
.LBB27_32:                              ;   in Loop: Header=BB27_14 Depth=1
	s_or_b64 exec, exec, s[26:27]
	s_xor_b64 s[18:19], s[18:19], -1
	s_and_saveexec_b64 s[26:27], s[18:19]
	s_xor_b64 s[18:19], exec, s[26:27]
	s_cbranch_execz .LBB27_13
; %bb.33:                               ;   in Loop: Header=BB27_14 Depth=1
	v_lshl_add_u32 v9, v12, 2, v18
	ds_write_b32 v9, v8
	s_branch .LBB27_13
.LBB27_34:
	s_or_b64 exec, exec, s[2:3]
	s_waitcnt vmcnt(0)
	v_cmp_lt_i32_e32 vcc, v6, v4
	s_waitcnt lgkmcnt(0)
	s_and_saveexec_b64 s[4:5], vcc
	s_cbranch_execz .LBB27_64
; %bb.35:
	v_add_u32_e32 v19, 1, v16
	s_mov_b64 s[18:19], 0
	s_branch .LBB27_38
.LBB27_36:                              ;   in Loop: Header=BB27_38 Depth=1
	s_or_b64 exec, exec, s[26:27]
	v_add_u32_e32 v6, 1, v6
	v_cmp_ge_i32_e32 vcc, v6, v4
	s_orn2_b64 s[26:27], vcc, exec
.LBB27_37:                              ;   in Loop: Header=BB27_38 Depth=1
	s_or_b64 exec, exec, s[2:3]
	s_and_b64 s[2:3], exec, s[26:27]
	s_or_b64 s[18:19], s[2:3], s[18:19]
	s_andn2_b64 exec, exec, s[18:19]
	s_cbranch_execz .LBB27_64
.LBB27_38:                              ; =>This Loop Header: Depth=1
                                        ;     Child Loop BB27_39 Depth 2
                                        ;     Child Loop BB27_44 Depth 2
                                        ;       Child Loop BB27_53 Depth 3
	v_ashrrev_i32_e32 v7, 31, v6
	v_lshl_add_u64 v[8:9], v[6:7], 2, s[10:11]
	global_load_dword v12, v[8:9], off
	v_lshl_add_u64 v[10:11], v[6:7], 3, s[12:13]
	global_load_dwordx2 v[8:9], v[10:11], off
	s_mov_b64 s[2:3], 0
	s_waitcnt vmcnt(1)
	v_subrev_u32_e32 v12, s34, v12
	v_ashrrev_i32_e32 v13, 31, v12
	v_lshlrev_b64 v[12:13], 2, v[12:13]
	v_lshl_add_u64 v[20:21], s[8:9], 0, v[12:13]
	v_lshl_add_u64 v[22:23], s[14:15], 0, v[12:13]
	global_load_dword v7, v[20:21], off offset:4
	global_load_dword v14, v[22:23], off
	v_lshl_add_u64 v[12:13], s[16:17], 0, v[12:13]
.LBB27_39:                              ;   Parent Loop BB27_38 Depth=1
                                        ; =>  This Inner Loop Header: Depth=2
	global_load_dword v15, v[12:13], off sc1
	s_waitcnt vmcnt(0)
	v_cmp_ne_u32_e32 vcc, 0, v15
	s_or_b64 s[2:3], vcc, s[2:3]
	s_andn2_b64 exec, exec, s[2:3]
	s_cbranch_execnz .LBB27_39
; %bb.40:                               ;   in Loop: Header=BB27_38 Depth=1
	s_or_b64 exec, exec, s[2:3]
	v_subrev_u32_e32 v7, s34, v7
	v_add_u32_e32 v12, -1, v7
	v_cmp_eq_u32_e32 vcc, -1, v14
	buffer_inv sc1
	s_mov_b64 s[26:27], -1
	v_cndmask_b32_e32 v12, v14, v12, vcc
	v_ashrrev_i32_e32 v13, 31, v12
	v_lshl_add_u64 v[14:15], v[12:13], 3, s[12:13]
	global_load_dwordx2 v[14:15], v[14:15], off
	s_waitcnt vmcnt(0)
	v_cmp_neq_f32_e32 vcc, 0, v14
	v_cmp_neq_f32_e64 s[2:3], 0, v15
	s_or_b64 s[28:29], vcc, s[2:3]
	s_and_saveexec_b64 s[2:3], s[28:29]
	s_cbranch_execz .LBB27_37
; %bb.41:                               ;   in Loop: Header=BB27_38 Depth=1
	v_mul_f32_e32 v13, v15, v15
	v_fmac_f32_e32 v13, v14, v14
	v_div_scale_f32 v20, s[26:27], v13, v13, 1.0
	v_rcp_f32_e32 v21, v20
	v_div_scale_f32 v22, vcc, 1.0, v13, 1.0
	v_fma_f32 v23, -v20, v21, 1.0
	v_fmac_f32_e32 v21, v23, v21
	v_mul_f32_e32 v23, v22, v21
	v_fma_f32 v24, -v20, v23, v22
	v_fmac_f32_e32 v23, v24, v21
	v_fma_f32 v20, -v20, v23, v22
	v_div_fmas_f32 v20, v20, v21, v23
	v_xor_b32_e32 v23, 0x80000000, v8
	v_mov_b32_e32 v22, v9
	v_mov_b32_e32 v24, v15
	v_pk_mul_f32 v[22:23], v[22:23], v[24:25] op_sel_hi:[1,0]
	v_div_fixup_f32 v20, v20, v13, 1.0
	v_pk_fma_f32 v[8:9], v[8:9], v[14:15], v[22:23] op_sel_hi:[1,0,1]
	s_nop 0
	v_pk_mul_f32 v[8:9], v[8:9], v[20:21] op_sel_hi:[1,0]
	global_store_dwordx2 v[10:11], v[8:9], off
	v_add_u32_e32 v10, v19, v12
	v_cmp_lt_i32_e32 vcc, v10, v7
	s_and_saveexec_b64 s[26:27], vcc
	s_cbranch_execz .LBB27_36
; %bb.42:                               ;   in Loop: Header=BB27_38 Depth=1
	v_pk_add_f32 v[12:13], v[8:9], 0 neg_lo:[1,1] neg_hi:[1,1]
	s_mov_b64 s[28:29], 0
	v_pk_mov_b32 v[12:13], v[8:9], v[12:13] op_sel:[1,0]
	s_branch .LBB27_44
.LBB27_43:                              ;   in Loop: Header=BB27_44 Depth=2
	s_or_b64 exec, exec, s[30:31]
	v_add_u32_e32 v10, 32, v10
	v_cmp_ge_i32_e32 vcc, v10, v7
	s_or_b64 s[28:29], vcc, s[28:29]
	s_andn2_b64 exec, exec, s[28:29]
	s_cbranch_execz .LBB27_36
.LBB27_44:                              ;   Parent Loop BB27_38 Depth=1
                                        ; =>  This Loop Header: Depth=2
                                        ;       Child Loop BB27_53 Depth 3
	v_ashrrev_i32_e32 v11, 31, v10
	v_lshl_add_u64 v[14:15], v[10:11], 2, s[10:11]
	global_load_dword v14, v[14:15], off
	v_mov_b32_e32 v15, 32
	s_mov_b64 s[36:37], 0
                                        ; implicit-def: $sgpr30_sgpr31
                                        ; implicit-def: $sgpr38_sgpr39
                                        ; implicit-def: $sgpr40_sgpr41
	s_waitcnt vmcnt(0)
	v_mul_lo_u32 v21, v14, 7
	s_branch .LBB27_53
.LBB27_45:                              ;   in Loop: Header=BB27_53 Depth=3
	s_or_b64 exec, exec, s[60:61]
	s_orn2_b64 s[56:57], s[56:57], exec
	s_orn2_b64 s[58:59], s[58:59], exec
.LBB27_46:                              ;   in Loop: Header=BB27_53 Depth=3
	s_or_b64 exec, exec, s[54:55]
	s_and_b64 s[56:57], s[56:57], exec
	s_orn2_b64 s[54:55], s[58:59], exec
.LBB27_47:                              ;   in Loop: Header=BB27_53 Depth=3
	s_or_b64 exec, exec, s[52:53]
	s_orn2_b64 s[56:57], s[56:57], exec
	s_orn2_b64 s[52:53], s[54:55], exec
.LBB27_48:                              ;   in Loop: Header=BB27_53 Depth=3
	s_or_b64 exec, exec, s[50:51]
	s_and_b64 s[54:55], s[56:57], exec
	s_orn2_b64 s[50:51], s[52:53], exec
.LBB27_49:                              ;   in Loop: Header=BB27_53 Depth=3
	s_or_b64 exec, exec, s[48:49]
	s_orn2_b64 s[48:49], s[54:55], exec
	s_orn2_b64 s[50:51], s[50:51], exec
.LBB27_50:                              ;   in Loop: Header=BB27_53 Depth=3
	s_or_b64 exec, exec, s[46:47]
	s_and_b64 s[48:49], s[48:49], exec
	s_orn2_b64 s[46:47], s[50:51], exec
.LBB27_51:                              ;   in Loop: Header=BB27_53 Depth=3
	s_or_b64 exec, exec, s[44:45]
	s_andn2_b64 s[40:41], s[40:41], exec
	s_and_b64 s[44:45], s[48:49], exec
	s_or_b64 s[40:41], s[40:41], s[44:45]
	s_andn2_b64 s[38:39], s[38:39], exec
	s_and_b64 s[44:45], s[46:47], exec
	s_or_b64 s[38:39], s[38:39], s[44:45]
.LBB27_52:                              ;   in Loop: Header=BB27_53 Depth=3
	s_or_b64 exec, exec, s[42:43]
	s_and_b64 s[42:43], exec, s[38:39]
	s_or_b64 s[36:37], s[42:43], s[36:37]
	s_andn2_b64 s[30:31], s[30:31], exec
	s_and_b64 s[42:43], s[40:41], exec
	s_or_b64 s[30:31], s[30:31], s[42:43]
	s_andn2_b64 exec, exec, s[36:37]
	s_cbranch_execz .LBB27_62
.LBB27_53:                              ;   Parent Loop BB27_38 Depth=1
                                        ;     Parent Loop BB27_44 Depth=2
                                        ; =>    This Inner Loop Header: Depth=3
	v_and_b32_e32 v20, 31, v21
	v_lshl_add_u32 v22, v20, 2, v5
	ds_read_b32 v22, v22
	s_or_b64 s[40:41], s[40:41], exec
	s_or_b64 s[38:39], s[38:39], exec
	s_waitcnt lgkmcnt(0)
	v_cmp_ne_u32_e32 vcc, -1, v22
	s_and_saveexec_b64 s[42:43], vcc
	s_cbranch_execz .LBB27_52
; %bb.54:                               ;   in Loop: Header=BB27_53 Depth=3
	v_cmp_ne_u32_e32 vcc, v22, v14
	s_mov_b64 s[46:47], -1
	s_mov_b64 s[48:49], 0
	s_and_saveexec_b64 s[44:45], vcc
	s_cbranch_execz .LBB27_51
; %bb.55:                               ;   in Loop: Header=BB27_53 Depth=3
	v_add_u32_e32 v20, 1, v21
	v_and_b32_e32 v20, 31, v20
	v_lshl_add_u32 v22, v20, 2, v5
	ds_read_b32 v22, v22
	s_mov_b64 s[50:51], -1
	s_mov_b64 s[48:49], -1
	s_waitcnt lgkmcnt(0)
	v_cmp_ne_u32_e32 vcc, -1, v22
	s_and_saveexec_b64 s[46:47], vcc
	s_cbranch_execz .LBB27_50
; %bb.56:                               ;   in Loop: Header=BB27_53 Depth=3
	v_cmp_ne_u32_e32 vcc, v22, v14
	s_mov_b64 s[54:55], 0
	s_and_saveexec_b64 s[48:49], vcc
	s_cbranch_execz .LBB27_49
; %bb.57:                               ;   in Loop: Header=BB27_53 Depth=3
	v_add_u32_e32 v20, 2, v21
	v_and_b32_e32 v20, 31, v20
	v_lshl_add_u32 v22, v20, 2, v5
	ds_read_b32 v22, v22
	s_mov_b64 s[52:53], -1
	s_mov_b64 s[56:57], -1
	s_waitcnt lgkmcnt(0)
	v_cmp_ne_u32_e32 vcc, -1, v22
	s_and_saveexec_b64 s[50:51], vcc
	s_cbranch_execz .LBB27_48
; %bb.58:                               ;   in Loop: Header=BB27_53 Depth=3
	v_cmp_ne_u32_e32 vcc, v22, v14
	s_mov_b64 s[54:55], -1
	s_mov_b64 s[56:57], 0
	s_and_saveexec_b64 s[52:53], vcc
	s_cbranch_execz .LBB27_47
; %bb.59:                               ;   in Loop: Header=BB27_53 Depth=3
	v_add_u32_e32 v20, 3, v21
	v_and_b32_e32 v20, 31, v20
	v_lshl_add_u32 v21, v20, 2, v5
	ds_read_b32 v22, v21
	s_mov_b64 s[58:59], -1
	s_mov_b64 s[56:57], -1
                                        ; implicit-def: $vgpr21
	s_waitcnt lgkmcnt(0)
	v_cmp_ne_u32_e32 vcc, -1, v22
	s_and_saveexec_b64 s[54:55], vcc
	s_cbranch_execz .LBB27_46
; %bb.60:                               ;   in Loop: Header=BB27_53 Depth=3
	v_cmp_ne_u32_e32 vcc, v22, v14
	s_mov_b64 s[56:57], 0
                                        ; implicit-def: $vgpr21
	s_and_saveexec_b64 s[60:61], vcc
	s_cbranch_execz .LBB27_45
; %bb.61:                               ;   in Loop: Header=BB27_53 Depth=3
	v_add_u32_e32 v15, -4, v15
	v_cmp_eq_u32_e32 vcc, 0, v15
	s_mov_b64 s[56:57], exec
	v_add_u32_e32 v21, 1, v20
	s_orn2_b64 s[58:59], vcc, exec
	s_branch .LBB27_45
.LBB27_62:                              ;   in Loop: Header=BB27_44 Depth=2
	s_or_b64 exec, exec, s[36:37]
	s_xor_b64 s[30:31], s[30:31], -1
	s_and_saveexec_b64 s[36:37], s[30:31]
	s_xor_b64 s[30:31], exec, s[36:37]
	s_cbranch_execz .LBB27_43
; %bb.63:                               ;   in Loop: Header=BB27_44 Depth=2
	v_lshl_add_u32 v14, v20, 2, v18
	ds_read_b32 v14, v14
	v_lshl_add_u64 v[20:21], v[10:11], 3, s[12:13]
	s_waitcnt lgkmcnt(0)
	v_ashrrev_i32_e32 v15, 31, v14
	v_lshl_add_u64 v[14:15], v[14:15], 3, s[12:13]
	global_load_dwordx2 v[22:23], v[20:21], off
	global_load_dwordx2 v[24:25], v[14:15], off
	s_waitcnt vmcnt(0)
	v_pk_fma_f32 v[20:21], v[8:9], v[22:23], v[24:25] op_sel_hi:[1,0,1] neg_lo:[1,0,0] neg_hi:[1,0,0]
	s_nop 0
	v_pk_fma_f32 v[20:21], v[12:13], v[22:23], v[20:21] op_sel:[0,1,0]
	global_store_dwordx2 v[14:15], v[20:21], off
	s_branch .LBB27_43
.LBB27_64:
	s_or_b64 exec, exec, s[4:5]
	v_cmp_lt_i32_e32 vcc, -1, v4
	s_and_saveexec_b64 s[8:9], vcc
	s_cbranch_execz .LBB27_86
; %bb.65:
	v_mov_b32_e32 v5, 0
	v_lshl_add_u64 v[8:9], v[4:5], 3, s[12:13]
	global_load_dwordx2 v[6:7], v[8:9], off
	s_waitcnt vmcnt(0)
	v_cmp_gt_f32_e32 vcc, 0, v6
	s_nop 1
	v_cndmask_b32_e64 v4, v6, -v6, vcc
	v_cmp_gt_f32_e32 vcc, 0, v7
	s_nop 1
	v_cndmask_b32_e64 v10, v7, -v7, vcc
	v_cmp_ngt_f32_e32 vcc, v4, v10
	s_and_saveexec_b64 s[2:3], vcc
	s_xor_b64 s[4:5], exec, s[2:3]
	s_cbranch_execz .LBB27_69
; %bb.66:
	v_cmp_neq_f32_e32 vcc, 0, v7
	s_and_saveexec_b64 s[10:11], vcc
	s_cbranch_execz .LBB27_68
; %bb.67:
	v_div_scale_f32 v5, s[2:3], v10, v10, v4
	v_rcp_f32_e32 v11, v5
	v_div_scale_f32 v12, vcc, v4, v10, v4
	s_mov_b32 s2, 0xf800000
	v_fma_f32 v13, -v5, v11, 1.0
	v_fmac_f32_e32 v11, v13, v11
	v_mul_f32_e32 v13, v12, v11
	v_fma_f32 v14, -v5, v13, v12
	v_fmac_f32_e32 v13, v14, v11
	v_fma_f32 v5, -v5, v13, v12
	v_div_fmas_f32 v5, v5, v11, v13
	v_div_fixup_f32 v4, v5, v10, v4
	v_fma_f32 v4, v4, v4, 1.0
	v_mul_f32_e32 v5, 0x4f800000, v4
	v_cmp_gt_f32_e32 vcc, s2, v4
	s_nop 1
	v_cndmask_b32_e32 v4, v4, v5, vcc
	v_sqrt_f32_e32 v5, v4
	s_nop 0
	v_add_u32_e32 v11, -1, v5
	v_fma_f32 v12, -v11, v5, v4
	v_cmp_ge_f32_e64 s[2:3], 0, v12
	v_add_u32_e32 v12, 1, v5
	s_nop 0
	v_cndmask_b32_e64 v11, v5, v11, s[2:3]
	v_fma_f32 v5, -v12, v5, v4
	v_cmp_lt_f32_e64 s[2:3], 0, v5
	s_nop 1
	v_cndmask_b32_e64 v5, v11, v12, s[2:3]
	v_mul_f32_e32 v11, 0x37800000, v5
	v_cndmask_b32_e32 v5, v5, v11, vcc
	v_mov_b32_e32 v11, 0x260
	v_cmp_class_f32_e32 vcc, v4, v11
	s_nop 1
	v_cndmask_b32_e32 v4, v5, v4, vcc
	v_mul_f32_e32 v5, v10, v4
.LBB27_68:
	s_or_b64 exec, exec, s[10:11]
                                        ; implicit-def: $vgpr4
                                        ; implicit-def: $vgpr10
.LBB27_69:
	s_andn2_saveexec_b64 s[4:5], s[4:5]
	s_cbranch_execz .LBB27_71
; %bb.70:
	v_div_scale_f32 v5, s[2:3], v4, v4, v10
	v_rcp_f32_e32 v11, v5
	v_div_scale_f32 v12, vcc, v10, v4, v10
	s_mov_b32 s2, 0xf800000
	v_fma_f32 v13, -v5, v11, 1.0
	v_fmac_f32_e32 v11, v13, v11
	v_mul_f32_e32 v13, v12, v11
	v_fma_f32 v14, -v5, v13, v12
	v_fmac_f32_e32 v13, v14, v11
	v_fma_f32 v5, -v5, v13, v12
	v_div_fmas_f32 v5, v5, v11, v13
	v_div_fixup_f32 v5, v5, v4, v10
	v_fma_f32 v5, v5, v5, 1.0
	v_mul_f32_e32 v10, 0x4f800000, v5
	v_cmp_gt_f32_e32 vcc, s2, v5
	s_nop 1
	v_cndmask_b32_e32 v5, v5, v10, vcc
	v_sqrt_f32_e32 v10, v5
	s_nop 0
	v_add_u32_e32 v11, -1, v10
	v_fma_f32 v12, -v11, v10, v5
	v_cmp_ge_f32_e64 s[2:3], 0, v12
	v_add_u32_e32 v12, 1, v10
	s_nop 0
	v_cndmask_b32_e64 v11, v10, v11, s[2:3]
	v_fma_f32 v10, -v12, v10, v5
	v_cmp_lt_f32_e64 s[2:3], 0, v10
	s_nop 1
	v_cndmask_b32_e64 v10, v11, v12, s[2:3]
	v_mul_f32_e32 v11, 0x37800000, v10
	v_cndmask_b32_e32 v10, v10, v11, vcc
	v_mov_b32_e32 v11, 0x260
	v_cmp_class_f32_e32 vcc, v5, v11
	s_nop 1
	v_cndmask_b32_e32 v5, v10, v5, vcc
	v_mul_f32_e32 v5, v4, v5
.LBB27_71:
	s_or_b64 exec, exec, s[4:5]
	v_cvt_f64_f32_e32 v[4:5], v5
	v_cmp_eq_u32_e64 s[4:5], 0, v16
	s_and_b64 vcc, exec, s[6:7]
	s_mov_b64 s[2:3], -1
	s_cbranch_vccnz .LBB27_75
; %bb.72:
	s_cmp_eq_u64 s[24:25], 8
	v_cvt_f64_f32_e32 v[10:11], v17
	s_cselect_b64 vcc, -1, 0
	v_cndmask_b32_e32 v3, v11, v3, vcc
	v_cndmask_b32_e32 v2, v10, v2, vcc
	v_cmp_ge_f64_e32 vcc, v[2:3], v[4:5]
	s_and_b64 s[6:7], s[4:5], vcc
	s_and_saveexec_b64 s[2:3], s[6:7]
	s_cbranch_execz .LBB27_74
; %bb.73:
	v_mov_b32_e32 v2, s33
	v_mov_b32_e32 v3, s35
	global_store_dwordx2 v[8:9], v[2:3], off
	buffer_wbl2 sc1
	s_waitcnt vmcnt(0)
	buffer_inv sc1
.LBB27_74:
	s_or_b64 exec, exec, s[2:3]
	s_mov_b64 s[2:3], 0
.LBB27_75:
	s_andn2_b64 vcc, exec, s[2:3]
	s_cbranch_vccnz .LBB27_86
; %bb.76:
	s_load_dwordx2 s[0:1], s[0:1], 0x48
	v_add_u32_e32 v2, s34, v0
	s_waitcnt lgkmcnt(0)
	v_cmp_ge_f64_e32 vcc, s[0:1], v[4:5]
	s_and_b64 s[2:3], s[4:5], vcc
	s_and_saveexec_b64 s[0:1], s[2:3]
	s_cbranch_execz .LBB27_81
; %bb.77:
	s_mov_b64 s[2:3], exec
	s_brev_b32 s6, -2
.LBB27_78:                              ; =>This Inner Loop Header: Depth=1
	s_ff1_i32_b64 s7, s[2:3]
	v_readlane_b32 s12, v2, s7
	s_lshl_b64 s[10:11], 1, s7
	s_min_i32 s6, s6, s12
	s_andn2_b64 s[2:3], s[2:3], s[10:11]
	s_cmp_lg_u64 s[2:3], 0
	s_cbranch_scc1 .LBB27_78
; %bb.79:
	v_mbcnt_lo_u32_b32 v3, exec_lo, 0
	v_mbcnt_hi_u32_b32 v3, exec_hi, v3
	v_cmp_eq_u32_e32 vcc, 0, v3
	s_and_saveexec_b64 s[2:3], vcc
	s_xor_b64 s[2:3], exec, s[2:3]
	s_cbranch_execz .LBB27_81
; %bb.80:
	v_mov_b32_e32 v3, 0
	v_mov_b32_e32 v4, s6
	global_atomic_smin v3, v4, s[22:23]
.LBB27_81:
	s_or_b64 exec, exec, s[0:1]
	v_cmp_eq_f32_e32 vcc, 0, v6
	v_cmp_eq_f32_e64 s[0:1], 0, v7
	s_and_b64 s[0:1], vcc, s[0:1]
	s_and_b64 s[0:1], s[4:5], s[0:1]
	s_and_b64 exec, exec, s[0:1]
	s_cbranch_execz .LBB27_86
; %bb.82:
	s_mov_b64 s[0:1], exec
	s_brev_b32 s2, -2
.LBB27_83:                              ; =>This Inner Loop Header: Depth=1
	s_ff1_i32_b64 s3, s[0:1]
	v_readlane_b32 s6, v2, s3
	s_lshl_b64 s[4:5], 1, s3
	s_min_i32 s2, s2, s6
	s_andn2_b64 s[0:1], s[0:1], s[4:5]
	s_cmp_lg_u64 s[0:1], 0
	s_cbranch_scc1 .LBB27_83
; %bb.84:
	v_mbcnt_lo_u32_b32 v2, exec_lo, 0
	v_mbcnt_hi_u32_b32 v2, exec_hi, v2
	v_cmp_eq_u32_e32 vcc, 0, v2
	s_and_saveexec_b64 s[0:1], vcc
	s_xor_b64 s[0:1], exec, s[0:1]
	s_cbranch_execz .LBB27_86
; %bb.85:
	v_mov_b32_e32 v2, 0
	v_mov_b32_e32 v3, s2
	global_atomic_smin v2, v3, s[20:21]
.LBB27_86:
	s_or_b64 exec, exec, s[8:9]
	v_cmp_eq_u32_e32 vcc, 0, v16
	buffer_wbl2 sc1
	s_waitcnt vmcnt(0)
	buffer_inv sc1
	s_and_b64 exec, exec, vcc
	s_cbranch_execz .LBB27_88
; %bb.87:
	v_lshl_add_u64 v[0:1], v[0:1], 2, s[16:17]
	v_mov_b32_e32 v2, 1
	buffer_wbl2 sc1
	global_store_dword v[0:1], v2, off sc1
.LBB27_88:
	s_endpgm
	.section	.rodata,"a",@progbits
	.p2align	6, 0x0
	.amdhsa_kernel _ZN9rocsparseL12csrilu0_hashILj256ELj32ELj1E21rocsparse_complex_numIfEEEviPKiS4_PT2_S4_PiS4_S7_S7_d21rocsparse_index_base_imNS_24const_host_device_scalarIfEENS9_IdEENS9_IS5_EEb
		.amdhsa_group_segment_fixed_size 2048
		.amdhsa_private_segment_fixed_size 0
		.amdhsa_kernarg_size 124
		.amdhsa_user_sgpr_count 2
		.amdhsa_user_sgpr_dispatch_ptr 0
		.amdhsa_user_sgpr_queue_ptr 0
		.amdhsa_user_sgpr_kernarg_segment_ptr 1
		.amdhsa_user_sgpr_dispatch_id 0
		.amdhsa_user_sgpr_kernarg_preload_length 0
		.amdhsa_user_sgpr_kernarg_preload_offset 0
		.amdhsa_user_sgpr_private_segment_size 0
		.amdhsa_uses_dynamic_stack 0
		.amdhsa_enable_private_segment 0
		.amdhsa_system_sgpr_workgroup_id_x 1
		.amdhsa_system_sgpr_workgroup_id_y 0
		.amdhsa_system_sgpr_workgroup_id_z 0
		.amdhsa_system_sgpr_workgroup_info 0
		.amdhsa_system_vgpr_workitem_id 0
		.amdhsa_next_free_vgpr 26
		.amdhsa_next_free_sgpr 62
		.amdhsa_accum_offset 28
		.amdhsa_reserve_vcc 1
		.amdhsa_float_round_mode_32 0
		.amdhsa_float_round_mode_16_64 0
		.amdhsa_float_denorm_mode_32 3
		.amdhsa_float_denorm_mode_16_64 3
		.amdhsa_dx10_clamp 1
		.amdhsa_ieee_mode 1
		.amdhsa_fp16_overflow 0
		.amdhsa_tg_split 0
		.amdhsa_exception_fp_ieee_invalid_op 0
		.amdhsa_exception_fp_denorm_src 0
		.amdhsa_exception_fp_ieee_div_zero 0
		.amdhsa_exception_fp_ieee_overflow 0
		.amdhsa_exception_fp_ieee_underflow 0
		.amdhsa_exception_fp_ieee_inexact 0
		.amdhsa_exception_int_div_zero 0
	.end_amdhsa_kernel
	.section	.text._ZN9rocsparseL12csrilu0_hashILj256ELj32ELj1E21rocsparse_complex_numIfEEEviPKiS4_PT2_S4_PiS4_S7_S7_d21rocsparse_index_base_imNS_24const_host_device_scalarIfEENS9_IdEENS9_IS5_EEb,"axG",@progbits,_ZN9rocsparseL12csrilu0_hashILj256ELj32ELj1E21rocsparse_complex_numIfEEEviPKiS4_PT2_S4_PiS4_S7_S7_d21rocsparse_index_base_imNS_24const_host_device_scalarIfEENS9_IdEENS9_IS5_EEb,comdat
.Lfunc_end27:
	.size	_ZN9rocsparseL12csrilu0_hashILj256ELj32ELj1E21rocsparse_complex_numIfEEEviPKiS4_PT2_S4_PiS4_S7_S7_d21rocsparse_index_base_imNS_24const_host_device_scalarIfEENS9_IdEENS9_IS5_EEb, .Lfunc_end27-_ZN9rocsparseL12csrilu0_hashILj256ELj32ELj1E21rocsparse_complex_numIfEEEviPKiS4_PT2_S4_PiS4_S7_S7_d21rocsparse_index_base_imNS_24const_host_device_scalarIfEENS9_IdEENS9_IS5_EEb
                                        ; -- End function
	.set _ZN9rocsparseL12csrilu0_hashILj256ELj32ELj1E21rocsparse_complex_numIfEEEviPKiS4_PT2_S4_PiS4_S7_S7_d21rocsparse_index_base_imNS_24const_host_device_scalarIfEENS9_IdEENS9_IS5_EEb.num_vgpr, 26
	.set _ZN9rocsparseL12csrilu0_hashILj256ELj32ELj1E21rocsparse_complex_numIfEEEviPKiS4_PT2_S4_PiS4_S7_S7_d21rocsparse_index_base_imNS_24const_host_device_scalarIfEENS9_IdEENS9_IS5_EEb.num_agpr, 0
	.set _ZN9rocsparseL12csrilu0_hashILj256ELj32ELj1E21rocsparse_complex_numIfEEEviPKiS4_PT2_S4_PiS4_S7_S7_d21rocsparse_index_base_imNS_24const_host_device_scalarIfEENS9_IdEENS9_IS5_EEb.numbered_sgpr, 62
	.set _ZN9rocsparseL12csrilu0_hashILj256ELj32ELj1E21rocsparse_complex_numIfEEEviPKiS4_PT2_S4_PiS4_S7_S7_d21rocsparse_index_base_imNS_24const_host_device_scalarIfEENS9_IdEENS9_IS5_EEb.num_named_barrier, 0
	.set _ZN9rocsparseL12csrilu0_hashILj256ELj32ELj1E21rocsparse_complex_numIfEEEviPKiS4_PT2_S4_PiS4_S7_S7_d21rocsparse_index_base_imNS_24const_host_device_scalarIfEENS9_IdEENS9_IS5_EEb.private_seg_size, 0
	.set _ZN9rocsparseL12csrilu0_hashILj256ELj32ELj1E21rocsparse_complex_numIfEEEviPKiS4_PT2_S4_PiS4_S7_S7_d21rocsparse_index_base_imNS_24const_host_device_scalarIfEENS9_IdEENS9_IS5_EEb.uses_vcc, 1
	.set _ZN9rocsparseL12csrilu0_hashILj256ELj32ELj1E21rocsparse_complex_numIfEEEviPKiS4_PT2_S4_PiS4_S7_S7_d21rocsparse_index_base_imNS_24const_host_device_scalarIfEENS9_IdEENS9_IS5_EEb.uses_flat_scratch, 0
	.set _ZN9rocsparseL12csrilu0_hashILj256ELj32ELj1E21rocsparse_complex_numIfEEEviPKiS4_PT2_S4_PiS4_S7_S7_d21rocsparse_index_base_imNS_24const_host_device_scalarIfEENS9_IdEENS9_IS5_EEb.has_dyn_sized_stack, 0
	.set _ZN9rocsparseL12csrilu0_hashILj256ELj32ELj1E21rocsparse_complex_numIfEEEviPKiS4_PT2_S4_PiS4_S7_S7_d21rocsparse_index_base_imNS_24const_host_device_scalarIfEENS9_IdEENS9_IS5_EEb.has_recursion, 0
	.set _ZN9rocsparseL12csrilu0_hashILj256ELj32ELj1E21rocsparse_complex_numIfEEEviPKiS4_PT2_S4_PiS4_S7_S7_d21rocsparse_index_base_imNS_24const_host_device_scalarIfEENS9_IdEENS9_IS5_EEb.has_indirect_call, 0
	.section	.AMDGPU.csdata,"",@progbits
; Kernel info:
; codeLenInByte = 3048
; TotalNumSgprs: 68
; NumVgprs: 26
; NumAgprs: 0
; TotalNumVgprs: 26
; ScratchSize: 0
; MemoryBound: 0
; FloatMode: 240
; IeeeMode: 1
; LDSByteSize: 2048 bytes/workgroup (compile time only)
; SGPRBlocks: 8
; VGPRBlocks: 3
; NumSGPRsForWavesPerEU: 68
; NumVGPRsForWavesPerEU: 26
; AccumOffset: 28
; Occupancy: 8
; WaveLimiterHint : 1
; COMPUTE_PGM_RSRC2:SCRATCH_EN: 0
; COMPUTE_PGM_RSRC2:USER_SGPR: 2
; COMPUTE_PGM_RSRC2:TRAP_HANDLER: 0
; COMPUTE_PGM_RSRC2:TGID_X_EN: 1
; COMPUTE_PGM_RSRC2:TGID_Y_EN: 0
; COMPUTE_PGM_RSRC2:TGID_Z_EN: 0
; COMPUTE_PGM_RSRC2:TIDIG_COMP_CNT: 0
; COMPUTE_PGM_RSRC3_GFX90A:ACCUM_OFFSET: 6
; COMPUTE_PGM_RSRC3_GFX90A:TG_SPLIT: 0
	.section	.text._ZN9rocsparseL12csrilu0_hashILj256ELj32ELj2E21rocsparse_complex_numIfEEEviPKiS4_PT2_S4_PiS4_S7_S7_d21rocsparse_index_base_imNS_24const_host_device_scalarIfEENS9_IdEENS9_IS5_EEb,"axG",@progbits,_ZN9rocsparseL12csrilu0_hashILj256ELj32ELj2E21rocsparse_complex_numIfEEEviPKiS4_PT2_S4_PiS4_S7_S7_d21rocsparse_index_base_imNS_24const_host_device_scalarIfEENS9_IdEENS9_IS5_EEb,comdat
	.globl	_ZN9rocsparseL12csrilu0_hashILj256ELj32ELj2E21rocsparse_complex_numIfEEEviPKiS4_PT2_S4_PiS4_S7_S7_d21rocsparse_index_base_imNS_24const_host_device_scalarIfEENS9_IdEENS9_IS5_EEb ; -- Begin function _ZN9rocsparseL12csrilu0_hashILj256ELj32ELj2E21rocsparse_complex_numIfEEEviPKiS4_PT2_S4_PiS4_S7_S7_d21rocsparse_index_base_imNS_24const_host_device_scalarIfEENS9_IdEENS9_IS5_EEb
	.p2align	8
	.type	_ZN9rocsparseL12csrilu0_hashILj256ELj32ELj2E21rocsparse_complex_numIfEEEviPKiS4_PT2_S4_PiS4_S7_S7_d21rocsparse_index_base_imNS_24const_host_device_scalarIfEENS9_IdEENS9_IS5_EEb,@function
_ZN9rocsparseL12csrilu0_hashILj256ELj32ELj2E21rocsparse_complex_numIfEEEviPKiS4_PT2_S4_PiS4_S7_S7_d21rocsparse_index_base_imNS_24const_host_device_scalarIfEENS9_IdEENS9_IS5_EEb: ; @_ZN9rocsparseL12csrilu0_hashILj256ELj32ELj2E21rocsparse_complex_numIfEEEviPKiS4_PT2_S4_PiS4_S7_S7_d21rocsparse_index_base_imNS_24const_host_device_scalarIfEENS9_IdEENS9_IS5_EEb
; %bb.0:
	s_load_dword s3, s[0:1], 0x78
	s_load_dwordx2 s[34:35], s[0:1], 0x50
	s_load_dwordx8 s[24:31], s[0:1], 0x58
	s_waitcnt lgkmcnt(0)
	s_bitcmp1_b32 s3, 0
	s_cselect_b64 s[4:5], -1, 0
	s_cmp_eq_u32 s35, 0
	s_cselect_b64 s[12:13], -1, 0
	s_cmp_lg_u32 s35, 0
	s_cselect_b64 s[8:9], -1, 0
	s_or_b64 s[14:15], s[12:13], s[4:5]
	s_xor_b64 s[6:7], s[14:15], -1
	s_and_b64 s[10:11], s[12:13], exec
	s_cselect_b32 s11, 0, s29
	s_cselect_b32 s10, 0, s28
	s_and_b64 vcc, exec, s[14:15]
	s_cbranch_vccnz .LBB28_2
; %bb.1:
	s_load_dword s3, s[26:27], 0x0
	s_mov_b64 s[10:11], s[28:29]
	s_waitcnt lgkmcnt(0)
	v_mov_b32_e32 v17, s3
	s_andn2_b64 vcc, exec, s[6:7]
	v_mov_b64_e32 v[2:3], s[10:11]
	s_cbranch_vccz .LBB28_3
	s_branch .LBB28_4
.LBB28_2:
	v_mov_b32_e32 v1, s26
	v_cndmask_b32_e64 v17, v1, 0, s[12:13]
	s_andn2_b64 vcc, exec, s[6:7]
	v_mov_b64_e32 v[2:3], s[10:11]
	s_cbranch_vccnz .LBB28_4
.LBB28_3:
	v_mov_b64_e32 v[2:3], s[28:29]
	flat_load_dwordx2 v[2:3], v[2:3]
.LBB28_4:
	v_cndmask_b32_e64 v1, 0, 1, s[8:9]
	s_mov_b32 s33, 0
	v_cmp_ne_u32_e64 s[6:7], 1, v1
	s_andn2_b64 vcc, exec, s[8:9]
	s_mov_b32 s35, 0
	s_cbranch_vccnz .LBB28_10
; %bb.5:
	s_xor_b64 s[8:9], s[4:5], -1
	v_cndmask_b32_e64 v1, 0, 1, s[8:9]
	v_cmp_ne_u32_e64 s[4:5], 1, v1
	s_andn2_b64 vcc, exec, s[8:9]
	s_mov_b32 s33, s30
	s_cbranch_vccnz .LBB28_7
; %bb.6:
	s_load_dword s33, s[30:31], 0x0
.LBB28_7:
	s_and_b64 vcc, exec, s[4:5]
	s_cbranch_vccnz .LBB28_9
; %bb.8:
	s_load_dword s31, s[30:31], 0x4
.LBB28_9:
	s_waitcnt lgkmcnt(0)
	s_mov_b32 s35, s31
.LBB28_10:
	s_load_dword s3, s[0:1], 0x0
	v_lshlrev_b32_e32 v1, 1, v0
	s_lshl_b32 s2, s2, 3
	v_and_b32_e32 v16, 31, v0
	v_and_b32_e32 v6, 0x1c0, v1
	v_mov_b32_e32 v1, 0x800
	v_lshrrev_b32_e32 v0, 5, v0
	s_and_b32 s2, s2, 0x7fffff8
	v_lshl_or_b32 v5, v6, 2, v1
	v_or_b32_e32 v0, s2, v0
	v_lshl_or_b32 v1, v16, 2, v5
	v_mov_b32_e32 v4, -1
	s_waitcnt lgkmcnt(0)
	v_cmp_gt_i32_e32 vcc, s3, v0
	ds_write2_b32 v1, v4, v4 offset1:32
	s_waitcnt lgkmcnt(0)
	s_and_saveexec_b64 s[2:3], vcc
	s_cbranch_execz .LBB28_88
; %bb.11:
	s_load_dwordx16 s[8:23], s[0:1], 0x8
	v_lshlrev_b32_e32 v0, 2, v0
	v_lshlrev_b32_e32 v18, 2, v6
	s_waitcnt lgkmcnt(0)
	global_load_dword v0, v0, s[18:19]
	s_waitcnt vmcnt(0)
	v_ashrrev_i32_e32 v1, 31, v0
	v_lshlrev_b64 v[8:9], 2, v[0:1]
	v_lshl_add_u64 v[10:11], s[8:9], 0, v[8:9]
	global_load_dwordx2 v[10:11], v[10:11], off
	v_lshl_add_u64 v[8:9], s[14:15], 0, v[8:9]
	global_load_dword v4, v[8:9], off
	s_waitcnt vmcnt(1)
	v_subrev_u32_e32 v6, s34, v10
	v_subrev_u32_e32 v7, s34, v11
	v_add_u32_e32 v8, v6, v16
	v_cmp_lt_i32_e32 vcc, v8, v7
	s_and_saveexec_b64 s[2:3], vcc
	s_cbranch_execz .LBB28_34
; %bb.12:
	s_mov_b64 s[4:5], 0
	v_mov_b32_e32 v10, -1
	s_branch .LBB28_14
.LBB28_13:                              ;   in Loop: Header=BB28_14 Depth=1
	s_or_b64 exec, exec, s[18:19]
	v_add_u32_e32 v8, 32, v8
	v_cmp_ge_i32_e32 vcc, v8, v7
	s_or_b64 s[4:5], vcc, s[4:5]
	s_andn2_b64 exec, exec, s[4:5]
	s_cbranch_execz .LBB28_34
.LBB28_14:                              ; =>This Loop Header: Depth=1
                                        ;     Child Loop BB28_23 Depth 2
	v_ashrrev_i32_e32 v9, 31, v8
	v_lshl_add_u64 v[12:13], v[8:9], 2, s[10:11]
	global_load_dword v9, v[12:13], off
	v_mov_b32_e32 v11, 64
	s_mov_b64 s[26:27], 0
                                        ; implicit-def: $sgpr18_sgpr19
                                        ; implicit-def: $sgpr28_sgpr29
                                        ; implicit-def: $sgpr30_sgpr31
	s_waitcnt vmcnt(0)
	v_mul_lo_u32 v13, v9, 39
	s_branch .LBB28_23
.LBB28_15:                              ;   in Loop: Header=BB28_23 Depth=2
	s_or_b64 exec, exec, s[54:55]
	s_orn2_b64 s[50:51], s[50:51], exec
	s_orn2_b64 s[52:53], s[52:53], exec
.LBB28_16:                              ;   in Loop: Header=BB28_23 Depth=2
	s_or_b64 exec, exec, s[48:49]
	s_and_b64 s[50:51], s[50:51], exec
	s_orn2_b64 s[48:49], s[52:53], exec
.LBB28_17:                              ;   in Loop: Header=BB28_23 Depth=2
	s_or_b64 exec, exec, s[46:47]
	s_orn2_b64 s[50:51], s[50:51], exec
	s_orn2_b64 s[46:47], s[48:49], exec
.LBB28_18:                              ;   in Loop: Header=BB28_23 Depth=2
	s_or_b64 exec, exec, s[44:45]
	s_and_b64 s[48:49], s[50:51], exec
	s_orn2_b64 s[44:45], s[46:47], exec
.LBB28_19:                              ;   in Loop: Header=BB28_23 Depth=2
	s_or_b64 exec, exec, s[42:43]
	s_orn2_b64 s[42:43], s[48:49], exec
	s_orn2_b64 s[44:45], s[44:45], exec
.LBB28_20:                              ;   in Loop: Header=BB28_23 Depth=2
	s_or_b64 exec, exec, s[40:41]
	s_and_b64 s[42:43], s[42:43], exec
	s_orn2_b64 s[40:41], s[44:45], exec
.LBB28_21:                              ;   in Loop: Header=BB28_23 Depth=2
	s_or_b64 exec, exec, s[38:39]
	s_andn2_b64 s[30:31], s[30:31], exec
	s_and_b64 s[38:39], s[42:43], exec
	s_or_b64 s[30:31], s[30:31], s[38:39]
	s_andn2_b64 s[28:29], s[28:29], exec
	s_and_b64 s[38:39], s[40:41], exec
	s_or_b64 s[28:29], s[28:29], s[38:39]
.LBB28_22:                              ;   in Loop: Header=BB28_23 Depth=2
	s_or_b64 exec, exec, s[36:37]
	s_and_b64 s[36:37], exec, s[28:29]
	s_or_b64 s[26:27], s[36:37], s[26:27]
	s_andn2_b64 s[18:19], s[18:19], exec
	s_and_b64 s[36:37], s[30:31], exec
	s_or_b64 s[18:19], s[18:19], s[36:37]
	s_andn2_b64 exec, exec, s[26:27]
	s_cbranch_execz .LBB28_32
.LBB28_23:                              ;   Parent Loop BB28_14 Depth=1
                                        ; =>  This Inner Loop Header: Depth=2
	v_and_b32_e32 v12, 63, v13
	v_lshl_add_u32 v14, v12, 2, v5
	ds_read_b32 v15, v14
	s_or_b64 s[30:31], s[30:31], exec
	s_or_b64 s[28:29], s[28:29], exec
	s_waitcnt lgkmcnt(0)
	v_cmp_ne_u32_e32 vcc, v15, v9
	s_and_saveexec_b64 s[36:37], vcc
	s_cbranch_execz .LBB28_22
; %bb.24:                               ;   in Loop: Header=BB28_23 Depth=2
	ds_cmpst_rtn_b32 v14, v14, v10, v9
	s_mov_b64 s[40:41], -1
	s_mov_b64 s[42:43], 0
	s_waitcnt lgkmcnt(0)
	v_cmp_ne_u32_e32 vcc, -1, v14
	s_and_saveexec_b64 s[38:39], vcc
	s_cbranch_execz .LBB28_21
; %bb.25:                               ;   in Loop: Header=BB28_23 Depth=2
	v_add_u32_e32 v12, 1, v13
	v_and_b32_e32 v12, 63, v12
	v_lshl_add_u32 v14, v12, 2, v5
	ds_read_b32 v15, v14
	s_mov_b64 s[44:45], -1
	s_mov_b64 s[42:43], -1
	s_waitcnt lgkmcnt(0)
	v_cmp_ne_u32_e32 vcc, v15, v9
	s_and_saveexec_b64 s[40:41], vcc
	s_cbranch_execz .LBB28_20
; %bb.26:                               ;   in Loop: Header=BB28_23 Depth=2
	ds_cmpst_rtn_b32 v14, v14, v10, v9
	s_mov_b64 s[48:49], 0
	s_waitcnt lgkmcnt(0)
	v_cmp_ne_u32_e32 vcc, -1, v14
	s_and_saveexec_b64 s[42:43], vcc
	s_cbranch_execz .LBB28_19
; %bb.27:                               ;   in Loop: Header=BB28_23 Depth=2
	v_add_u32_e32 v12, 2, v13
	v_and_b32_e32 v12, 63, v12
	v_lshl_add_u32 v14, v12, 2, v5
	ds_read_b32 v15, v14
	s_mov_b64 s[46:47], -1
	s_mov_b64 s[50:51], -1
	s_waitcnt lgkmcnt(0)
	v_cmp_ne_u32_e32 vcc, v15, v9
	s_and_saveexec_b64 s[44:45], vcc
	s_cbranch_execz .LBB28_18
; %bb.28:                               ;   in Loop: Header=BB28_23 Depth=2
	ds_cmpst_rtn_b32 v14, v14, v10, v9
	s_mov_b64 s[48:49], -1
	s_mov_b64 s[50:51], 0
	s_waitcnt lgkmcnt(0)
	v_cmp_ne_u32_e32 vcc, -1, v14
	s_and_saveexec_b64 s[46:47], vcc
	s_cbranch_execz .LBB28_17
; %bb.29:                               ;   in Loop: Header=BB28_23 Depth=2
	v_add_u32_e32 v12, 3, v13
	v_and_b32_e32 v12, 63, v12
	v_lshl_add_u32 v14, v12, 2, v5
	ds_read_b32 v13, v14
	s_mov_b64 s[52:53], -1
	s_mov_b64 s[50:51], -1
	s_waitcnt lgkmcnt(0)
	v_cmp_ne_u32_e32 vcc, v13, v9
                                        ; implicit-def: $vgpr13
	s_and_saveexec_b64 s[48:49], vcc
	s_cbranch_execz .LBB28_16
; %bb.30:                               ;   in Loop: Header=BB28_23 Depth=2
	ds_cmpst_rtn_b32 v13, v14, v10, v9
	s_mov_b64 s[50:51], 0
	s_waitcnt lgkmcnt(0)
	v_cmp_ne_u32_e32 vcc, -1, v13
                                        ; implicit-def: $vgpr13
	s_and_saveexec_b64 s[54:55], vcc
	s_cbranch_execz .LBB28_15
; %bb.31:                               ;   in Loop: Header=BB28_23 Depth=2
	v_add_u32_e32 v11, -4, v11
	v_cmp_eq_u32_e32 vcc, 0, v11
	s_mov_b64 s[50:51], exec
	v_add_u32_e32 v13, 1, v12
	s_orn2_b64 s[52:53], vcc, exec
	s_branch .LBB28_15
.LBB28_32:                              ;   in Loop: Header=BB28_14 Depth=1
	s_or_b64 exec, exec, s[26:27]
	s_xor_b64 s[18:19], s[18:19], -1
	s_and_saveexec_b64 s[26:27], s[18:19]
	s_xor_b64 s[18:19], exec, s[26:27]
	s_cbranch_execz .LBB28_13
; %bb.33:                               ;   in Loop: Header=BB28_14 Depth=1
	v_lshl_add_u32 v9, v12, 2, v18
	ds_write_b32 v9, v8
	s_branch .LBB28_13
.LBB28_34:
	s_or_b64 exec, exec, s[2:3]
	s_waitcnt vmcnt(0)
	v_cmp_lt_i32_e32 vcc, v6, v4
	s_waitcnt lgkmcnt(0)
	s_and_saveexec_b64 s[4:5], vcc
	s_cbranch_execz .LBB28_64
; %bb.35:
	v_add_u32_e32 v19, 1, v16
	s_mov_b64 s[18:19], 0
	s_branch .LBB28_38
.LBB28_36:                              ;   in Loop: Header=BB28_38 Depth=1
	s_or_b64 exec, exec, s[26:27]
	v_add_u32_e32 v6, 1, v6
	v_cmp_ge_i32_e32 vcc, v6, v4
	s_orn2_b64 s[26:27], vcc, exec
.LBB28_37:                              ;   in Loop: Header=BB28_38 Depth=1
	s_or_b64 exec, exec, s[2:3]
	s_and_b64 s[2:3], exec, s[26:27]
	s_or_b64 s[18:19], s[2:3], s[18:19]
	s_andn2_b64 exec, exec, s[18:19]
	s_cbranch_execz .LBB28_64
.LBB28_38:                              ; =>This Loop Header: Depth=1
                                        ;     Child Loop BB28_39 Depth 2
                                        ;     Child Loop BB28_44 Depth 2
                                        ;       Child Loop BB28_53 Depth 3
	v_ashrrev_i32_e32 v7, 31, v6
	v_lshl_add_u64 v[8:9], v[6:7], 2, s[10:11]
	global_load_dword v12, v[8:9], off
	v_lshl_add_u64 v[10:11], v[6:7], 3, s[12:13]
	global_load_dwordx2 v[8:9], v[10:11], off
	s_mov_b64 s[2:3], 0
	s_waitcnt vmcnt(1)
	v_subrev_u32_e32 v12, s34, v12
	v_ashrrev_i32_e32 v13, 31, v12
	v_lshlrev_b64 v[12:13], 2, v[12:13]
	v_lshl_add_u64 v[20:21], s[8:9], 0, v[12:13]
	v_lshl_add_u64 v[22:23], s[14:15], 0, v[12:13]
	global_load_dword v7, v[20:21], off offset:4
	global_load_dword v14, v[22:23], off
	v_lshl_add_u64 v[12:13], s[16:17], 0, v[12:13]
.LBB28_39:                              ;   Parent Loop BB28_38 Depth=1
                                        ; =>  This Inner Loop Header: Depth=2
	global_load_dword v15, v[12:13], off sc1
	s_waitcnt vmcnt(0)
	v_cmp_ne_u32_e32 vcc, 0, v15
	s_or_b64 s[2:3], vcc, s[2:3]
	s_andn2_b64 exec, exec, s[2:3]
	s_cbranch_execnz .LBB28_39
; %bb.40:                               ;   in Loop: Header=BB28_38 Depth=1
	s_or_b64 exec, exec, s[2:3]
	v_subrev_u32_e32 v7, s34, v7
	v_add_u32_e32 v12, -1, v7
	v_cmp_eq_u32_e32 vcc, -1, v14
	buffer_inv sc1
	s_mov_b64 s[26:27], -1
	v_cndmask_b32_e32 v12, v14, v12, vcc
	v_ashrrev_i32_e32 v13, 31, v12
	v_lshl_add_u64 v[14:15], v[12:13], 3, s[12:13]
	global_load_dwordx2 v[14:15], v[14:15], off
	s_waitcnt vmcnt(0)
	v_cmp_neq_f32_e32 vcc, 0, v14
	v_cmp_neq_f32_e64 s[2:3], 0, v15
	s_or_b64 s[28:29], vcc, s[2:3]
	s_and_saveexec_b64 s[2:3], s[28:29]
	s_cbranch_execz .LBB28_37
; %bb.41:                               ;   in Loop: Header=BB28_38 Depth=1
	v_mul_f32_e32 v13, v15, v15
	v_fmac_f32_e32 v13, v14, v14
	v_div_scale_f32 v20, s[26:27], v13, v13, 1.0
	v_rcp_f32_e32 v21, v20
	v_div_scale_f32 v22, vcc, 1.0, v13, 1.0
	v_fma_f32 v23, -v20, v21, 1.0
	v_fmac_f32_e32 v21, v23, v21
	v_mul_f32_e32 v23, v22, v21
	v_fma_f32 v24, -v20, v23, v22
	v_fmac_f32_e32 v23, v24, v21
	v_fma_f32 v20, -v20, v23, v22
	v_div_fmas_f32 v20, v20, v21, v23
	v_xor_b32_e32 v23, 0x80000000, v8
	v_mov_b32_e32 v22, v9
	v_mov_b32_e32 v24, v15
	v_pk_mul_f32 v[22:23], v[22:23], v[24:25] op_sel_hi:[1,0]
	v_div_fixup_f32 v20, v20, v13, 1.0
	v_pk_fma_f32 v[8:9], v[8:9], v[14:15], v[22:23] op_sel_hi:[1,0,1]
	s_nop 0
	v_pk_mul_f32 v[8:9], v[8:9], v[20:21] op_sel_hi:[1,0]
	global_store_dwordx2 v[10:11], v[8:9], off
	v_add_u32_e32 v10, v19, v12
	v_cmp_lt_i32_e32 vcc, v10, v7
	s_and_saveexec_b64 s[26:27], vcc
	s_cbranch_execz .LBB28_36
; %bb.42:                               ;   in Loop: Header=BB28_38 Depth=1
	v_pk_add_f32 v[12:13], v[8:9], 0 neg_lo:[1,1] neg_hi:[1,1]
	s_mov_b64 s[28:29], 0
	v_pk_mov_b32 v[12:13], v[8:9], v[12:13] op_sel:[1,0]
	s_branch .LBB28_44
.LBB28_43:                              ;   in Loop: Header=BB28_44 Depth=2
	s_or_b64 exec, exec, s[30:31]
	v_add_u32_e32 v10, 32, v10
	v_cmp_ge_i32_e32 vcc, v10, v7
	s_or_b64 s[28:29], vcc, s[28:29]
	s_andn2_b64 exec, exec, s[28:29]
	s_cbranch_execz .LBB28_36
.LBB28_44:                              ;   Parent Loop BB28_38 Depth=1
                                        ; =>  This Loop Header: Depth=2
                                        ;       Child Loop BB28_53 Depth 3
	v_ashrrev_i32_e32 v11, 31, v10
	v_lshl_add_u64 v[14:15], v[10:11], 2, s[10:11]
	global_load_dword v14, v[14:15], off
	v_mov_b32_e32 v15, 64
	s_mov_b64 s[36:37], 0
                                        ; implicit-def: $sgpr30_sgpr31
                                        ; implicit-def: $sgpr38_sgpr39
                                        ; implicit-def: $sgpr40_sgpr41
	s_waitcnt vmcnt(0)
	v_mul_lo_u32 v21, v14, 39
	s_branch .LBB28_53
.LBB28_45:                              ;   in Loop: Header=BB28_53 Depth=3
	s_or_b64 exec, exec, s[60:61]
	s_orn2_b64 s[56:57], s[56:57], exec
	s_orn2_b64 s[58:59], s[58:59], exec
.LBB28_46:                              ;   in Loop: Header=BB28_53 Depth=3
	s_or_b64 exec, exec, s[54:55]
	s_and_b64 s[56:57], s[56:57], exec
	s_orn2_b64 s[54:55], s[58:59], exec
.LBB28_47:                              ;   in Loop: Header=BB28_53 Depth=3
	s_or_b64 exec, exec, s[52:53]
	s_orn2_b64 s[56:57], s[56:57], exec
	s_orn2_b64 s[52:53], s[54:55], exec
.LBB28_48:                              ;   in Loop: Header=BB28_53 Depth=3
	s_or_b64 exec, exec, s[50:51]
	s_and_b64 s[54:55], s[56:57], exec
	s_orn2_b64 s[50:51], s[52:53], exec
.LBB28_49:                              ;   in Loop: Header=BB28_53 Depth=3
	s_or_b64 exec, exec, s[48:49]
	s_orn2_b64 s[48:49], s[54:55], exec
	s_orn2_b64 s[50:51], s[50:51], exec
.LBB28_50:                              ;   in Loop: Header=BB28_53 Depth=3
	s_or_b64 exec, exec, s[46:47]
	s_and_b64 s[48:49], s[48:49], exec
	s_orn2_b64 s[46:47], s[50:51], exec
.LBB28_51:                              ;   in Loop: Header=BB28_53 Depth=3
	s_or_b64 exec, exec, s[44:45]
	s_andn2_b64 s[40:41], s[40:41], exec
	s_and_b64 s[44:45], s[48:49], exec
	s_or_b64 s[40:41], s[40:41], s[44:45]
	s_andn2_b64 s[38:39], s[38:39], exec
	s_and_b64 s[44:45], s[46:47], exec
	s_or_b64 s[38:39], s[38:39], s[44:45]
.LBB28_52:                              ;   in Loop: Header=BB28_53 Depth=3
	s_or_b64 exec, exec, s[42:43]
	s_and_b64 s[42:43], exec, s[38:39]
	s_or_b64 s[36:37], s[42:43], s[36:37]
	s_andn2_b64 s[30:31], s[30:31], exec
	s_and_b64 s[42:43], s[40:41], exec
	s_or_b64 s[30:31], s[30:31], s[42:43]
	s_andn2_b64 exec, exec, s[36:37]
	s_cbranch_execz .LBB28_62
.LBB28_53:                              ;   Parent Loop BB28_38 Depth=1
                                        ;     Parent Loop BB28_44 Depth=2
                                        ; =>    This Inner Loop Header: Depth=3
	v_and_b32_e32 v20, 63, v21
	v_lshl_add_u32 v22, v20, 2, v5
	ds_read_b32 v22, v22
	s_or_b64 s[40:41], s[40:41], exec
	s_or_b64 s[38:39], s[38:39], exec
	s_waitcnt lgkmcnt(0)
	v_cmp_ne_u32_e32 vcc, -1, v22
	s_and_saveexec_b64 s[42:43], vcc
	s_cbranch_execz .LBB28_52
; %bb.54:                               ;   in Loop: Header=BB28_53 Depth=3
	v_cmp_ne_u32_e32 vcc, v22, v14
	s_mov_b64 s[46:47], -1
	s_mov_b64 s[48:49], 0
	s_and_saveexec_b64 s[44:45], vcc
	s_cbranch_execz .LBB28_51
; %bb.55:                               ;   in Loop: Header=BB28_53 Depth=3
	v_add_u32_e32 v20, 1, v21
	v_and_b32_e32 v20, 63, v20
	v_lshl_add_u32 v22, v20, 2, v5
	ds_read_b32 v22, v22
	s_mov_b64 s[50:51], -1
	s_mov_b64 s[48:49], -1
	s_waitcnt lgkmcnt(0)
	v_cmp_ne_u32_e32 vcc, -1, v22
	s_and_saveexec_b64 s[46:47], vcc
	s_cbranch_execz .LBB28_50
; %bb.56:                               ;   in Loop: Header=BB28_53 Depth=3
	v_cmp_ne_u32_e32 vcc, v22, v14
	s_mov_b64 s[54:55], 0
	s_and_saveexec_b64 s[48:49], vcc
	s_cbranch_execz .LBB28_49
; %bb.57:                               ;   in Loop: Header=BB28_53 Depth=3
	v_add_u32_e32 v20, 2, v21
	v_and_b32_e32 v20, 63, v20
	v_lshl_add_u32 v22, v20, 2, v5
	ds_read_b32 v22, v22
	s_mov_b64 s[52:53], -1
	s_mov_b64 s[56:57], -1
	s_waitcnt lgkmcnt(0)
	v_cmp_ne_u32_e32 vcc, -1, v22
	s_and_saveexec_b64 s[50:51], vcc
	s_cbranch_execz .LBB28_48
; %bb.58:                               ;   in Loop: Header=BB28_53 Depth=3
	v_cmp_ne_u32_e32 vcc, v22, v14
	s_mov_b64 s[54:55], -1
	s_mov_b64 s[56:57], 0
	s_and_saveexec_b64 s[52:53], vcc
	s_cbranch_execz .LBB28_47
; %bb.59:                               ;   in Loop: Header=BB28_53 Depth=3
	v_add_u32_e32 v20, 3, v21
	v_and_b32_e32 v20, 63, v20
	v_lshl_add_u32 v21, v20, 2, v5
	ds_read_b32 v22, v21
	s_mov_b64 s[58:59], -1
	s_mov_b64 s[56:57], -1
                                        ; implicit-def: $vgpr21
	s_waitcnt lgkmcnt(0)
	v_cmp_ne_u32_e32 vcc, -1, v22
	s_and_saveexec_b64 s[54:55], vcc
	s_cbranch_execz .LBB28_46
; %bb.60:                               ;   in Loop: Header=BB28_53 Depth=3
	v_cmp_ne_u32_e32 vcc, v22, v14
	s_mov_b64 s[56:57], 0
                                        ; implicit-def: $vgpr21
	s_and_saveexec_b64 s[60:61], vcc
	s_cbranch_execz .LBB28_45
; %bb.61:                               ;   in Loop: Header=BB28_53 Depth=3
	v_add_u32_e32 v15, -4, v15
	v_cmp_eq_u32_e32 vcc, 0, v15
	s_mov_b64 s[56:57], exec
	v_add_u32_e32 v21, 1, v20
	s_orn2_b64 s[58:59], vcc, exec
	s_branch .LBB28_45
.LBB28_62:                              ;   in Loop: Header=BB28_44 Depth=2
	s_or_b64 exec, exec, s[36:37]
	s_xor_b64 s[30:31], s[30:31], -1
	s_and_saveexec_b64 s[36:37], s[30:31]
	s_xor_b64 s[30:31], exec, s[36:37]
	s_cbranch_execz .LBB28_43
; %bb.63:                               ;   in Loop: Header=BB28_44 Depth=2
	v_lshl_add_u32 v14, v20, 2, v18
	ds_read_b32 v14, v14
	v_lshl_add_u64 v[20:21], v[10:11], 3, s[12:13]
	s_waitcnt lgkmcnt(0)
	v_ashrrev_i32_e32 v15, 31, v14
	v_lshl_add_u64 v[14:15], v[14:15], 3, s[12:13]
	global_load_dwordx2 v[22:23], v[20:21], off
	global_load_dwordx2 v[24:25], v[14:15], off
	s_waitcnt vmcnt(0)
	v_pk_fma_f32 v[20:21], v[8:9], v[22:23], v[24:25] op_sel_hi:[1,0,1] neg_lo:[1,0,0] neg_hi:[1,0,0]
	s_nop 0
	v_pk_fma_f32 v[20:21], v[12:13], v[22:23], v[20:21] op_sel:[0,1,0]
	global_store_dwordx2 v[14:15], v[20:21], off
	s_branch .LBB28_43
.LBB28_64:
	s_or_b64 exec, exec, s[4:5]
	v_cmp_lt_i32_e32 vcc, -1, v4
	s_and_saveexec_b64 s[8:9], vcc
	s_cbranch_execz .LBB28_86
; %bb.65:
	v_mov_b32_e32 v5, 0
	v_lshl_add_u64 v[8:9], v[4:5], 3, s[12:13]
	global_load_dwordx2 v[6:7], v[8:9], off
	s_waitcnt vmcnt(0)
	v_cmp_gt_f32_e32 vcc, 0, v6
	s_nop 1
	v_cndmask_b32_e64 v4, v6, -v6, vcc
	v_cmp_gt_f32_e32 vcc, 0, v7
	s_nop 1
	v_cndmask_b32_e64 v10, v7, -v7, vcc
	v_cmp_ngt_f32_e32 vcc, v4, v10
	s_and_saveexec_b64 s[2:3], vcc
	s_xor_b64 s[4:5], exec, s[2:3]
	s_cbranch_execz .LBB28_69
; %bb.66:
	v_cmp_neq_f32_e32 vcc, 0, v7
	s_and_saveexec_b64 s[10:11], vcc
	s_cbranch_execz .LBB28_68
; %bb.67:
	v_div_scale_f32 v5, s[2:3], v10, v10, v4
	v_rcp_f32_e32 v11, v5
	v_div_scale_f32 v12, vcc, v4, v10, v4
	s_mov_b32 s2, 0xf800000
	v_fma_f32 v13, -v5, v11, 1.0
	v_fmac_f32_e32 v11, v13, v11
	v_mul_f32_e32 v13, v12, v11
	v_fma_f32 v14, -v5, v13, v12
	v_fmac_f32_e32 v13, v14, v11
	v_fma_f32 v5, -v5, v13, v12
	v_div_fmas_f32 v5, v5, v11, v13
	v_div_fixup_f32 v4, v5, v10, v4
	v_fma_f32 v4, v4, v4, 1.0
	v_mul_f32_e32 v5, 0x4f800000, v4
	v_cmp_gt_f32_e32 vcc, s2, v4
	s_nop 1
	v_cndmask_b32_e32 v4, v4, v5, vcc
	v_sqrt_f32_e32 v5, v4
	s_nop 0
	v_add_u32_e32 v11, -1, v5
	v_fma_f32 v12, -v11, v5, v4
	v_cmp_ge_f32_e64 s[2:3], 0, v12
	v_add_u32_e32 v12, 1, v5
	s_nop 0
	v_cndmask_b32_e64 v11, v5, v11, s[2:3]
	v_fma_f32 v5, -v12, v5, v4
	v_cmp_lt_f32_e64 s[2:3], 0, v5
	s_nop 1
	v_cndmask_b32_e64 v5, v11, v12, s[2:3]
	v_mul_f32_e32 v11, 0x37800000, v5
	v_cndmask_b32_e32 v5, v5, v11, vcc
	v_mov_b32_e32 v11, 0x260
	v_cmp_class_f32_e32 vcc, v4, v11
	s_nop 1
	v_cndmask_b32_e32 v4, v5, v4, vcc
	v_mul_f32_e32 v5, v10, v4
.LBB28_68:
	s_or_b64 exec, exec, s[10:11]
                                        ; implicit-def: $vgpr4
                                        ; implicit-def: $vgpr10
.LBB28_69:
	s_andn2_saveexec_b64 s[4:5], s[4:5]
	s_cbranch_execz .LBB28_71
; %bb.70:
	v_div_scale_f32 v5, s[2:3], v4, v4, v10
	v_rcp_f32_e32 v11, v5
	v_div_scale_f32 v12, vcc, v10, v4, v10
	s_mov_b32 s2, 0xf800000
	v_fma_f32 v13, -v5, v11, 1.0
	v_fmac_f32_e32 v11, v13, v11
	v_mul_f32_e32 v13, v12, v11
	v_fma_f32 v14, -v5, v13, v12
	v_fmac_f32_e32 v13, v14, v11
	v_fma_f32 v5, -v5, v13, v12
	v_div_fmas_f32 v5, v5, v11, v13
	v_div_fixup_f32 v5, v5, v4, v10
	v_fma_f32 v5, v5, v5, 1.0
	v_mul_f32_e32 v10, 0x4f800000, v5
	v_cmp_gt_f32_e32 vcc, s2, v5
	s_nop 1
	v_cndmask_b32_e32 v5, v5, v10, vcc
	v_sqrt_f32_e32 v10, v5
	s_nop 0
	v_add_u32_e32 v11, -1, v10
	v_fma_f32 v12, -v11, v10, v5
	v_cmp_ge_f32_e64 s[2:3], 0, v12
	v_add_u32_e32 v12, 1, v10
	s_nop 0
	v_cndmask_b32_e64 v11, v10, v11, s[2:3]
	v_fma_f32 v10, -v12, v10, v5
	v_cmp_lt_f32_e64 s[2:3], 0, v10
	s_nop 1
	v_cndmask_b32_e64 v10, v11, v12, s[2:3]
	v_mul_f32_e32 v11, 0x37800000, v10
	v_cndmask_b32_e32 v10, v10, v11, vcc
	v_mov_b32_e32 v11, 0x260
	v_cmp_class_f32_e32 vcc, v5, v11
	s_nop 1
	v_cndmask_b32_e32 v5, v10, v5, vcc
	v_mul_f32_e32 v5, v4, v5
.LBB28_71:
	s_or_b64 exec, exec, s[4:5]
	v_cvt_f64_f32_e32 v[4:5], v5
	v_cmp_eq_u32_e64 s[4:5], 0, v16
	s_and_b64 vcc, exec, s[6:7]
	s_mov_b64 s[2:3], -1
	s_cbranch_vccnz .LBB28_75
; %bb.72:
	s_cmp_eq_u64 s[24:25], 8
	v_cvt_f64_f32_e32 v[10:11], v17
	s_cselect_b64 vcc, -1, 0
	v_cndmask_b32_e32 v3, v11, v3, vcc
	v_cndmask_b32_e32 v2, v10, v2, vcc
	v_cmp_ge_f64_e32 vcc, v[2:3], v[4:5]
	s_and_b64 s[6:7], s[4:5], vcc
	s_and_saveexec_b64 s[2:3], s[6:7]
	s_cbranch_execz .LBB28_74
; %bb.73:
	v_mov_b32_e32 v2, s33
	v_mov_b32_e32 v3, s35
	global_store_dwordx2 v[8:9], v[2:3], off
	buffer_wbl2 sc1
	s_waitcnt vmcnt(0)
	buffer_inv sc1
.LBB28_74:
	s_or_b64 exec, exec, s[2:3]
	s_mov_b64 s[2:3], 0
.LBB28_75:
	s_andn2_b64 vcc, exec, s[2:3]
	s_cbranch_vccnz .LBB28_86
; %bb.76:
	s_load_dwordx2 s[0:1], s[0:1], 0x48
	v_add_u32_e32 v2, s34, v0
	s_waitcnt lgkmcnt(0)
	v_cmp_ge_f64_e32 vcc, s[0:1], v[4:5]
	s_and_b64 s[2:3], s[4:5], vcc
	s_and_saveexec_b64 s[0:1], s[2:3]
	s_cbranch_execz .LBB28_81
; %bb.77:
	s_mov_b64 s[2:3], exec
	s_brev_b32 s6, -2
.LBB28_78:                              ; =>This Inner Loop Header: Depth=1
	s_ff1_i32_b64 s7, s[2:3]
	v_readlane_b32 s12, v2, s7
	s_lshl_b64 s[10:11], 1, s7
	s_min_i32 s6, s6, s12
	s_andn2_b64 s[2:3], s[2:3], s[10:11]
	s_cmp_lg_u64 s[2:3], 0
	s_cbranch_scc1 .LBB28_78
; %bb.79:
	v_mbcnt_lo_u32_b32 v3, exec_lo, 0
	v_mbcnt_hi_u32_b32 v3, exec_hi, v3
	v_cmp_eq_u32_e32 vcc, 0, v3
	s_and_saveexec_b64 s[2:3], vcc
	s_xor_b64 s[2:3], exec, s[2:3]
	s_cbranch_execz .LBB28_81
; %bb.80:
	v_mov_b32_e32 v3, 0
	v_mov_b32_e32 v4, s6
	global_atomic_smin v3, v4, s[22:23]
.LBB28_81:
	s_or_b64 exec, exec, s[0:1]
	v_cmp_eq_f32_e32 vcc, 0, v6
	v_cmp_eq_f32_e64 s[0:1], 0, v7
	s_and_b64 s[0:1], vcc, s[0:1]
	s_and_b64 s[0:1], s[4:5], s[0:1]
	s_and_b64 exec, exec, s[0:1]
	s_cbranch_execz .LBB28_86
; %bb.82:
	s_mov_b64 s[0:1], exec
	s_brev_b32 s2, -2
.LBB28_83:                              ; =>This Inner Loop Header: Depth=1
	s_ff1_i32_b64 s3, s[0:1]
	v_readlane_b32 s6, v2, s3
	s_lshl_b64 s[4:5], 1, s3
	s_min_i32 s2, s2, s6
	s_andn2_b64 s[0:1], s[0:1], s[4:5]
	s_cmp_lg_u64 s[0:1], 0
	s_cbranch_scc1 .LBB28_83
; %bb.84:
	v_mbcnt_lo_u32_b32 v2, exec_lo, 0
	v_mbcnt_hi_u32_b32 v2, exec_hi, v2
	v_cmp_eq_u32_e32 vcc, 0, v2
	s_and_saveexec_b64 s[0:1], vcc
	s_xor_b64 s[0:1], exec, s[0:1]
	s_cbranch_execz .LBB28_86
; %bb.85:
	v_mov_b32_e32 v2, 0
	v_mov_b32_e32 v3, s2
	global_atomic_smin v2, v3, s[20:21]
.LBB28_86:
	s_or_b64 exec, exec, s[8:9]
	v_cmp_eq_u32_e32 vcc, 0, v16
	buffer_wbl2 sc1
	s_waitcnt vmcnt(0)
	buffer_inv sc1
	s_and_b64 exec, exec, vcc
	s_cbranch_execz .LBB28_88
; %bb.87:
	v_lshl_add_u64 v[0:1], v[0:1], 2, s[16:17]
	v_mov_b32_e32 v2, 1
	buffer_wbl2 sc1
	global_store_dword v[0:1], v2, off sc1
.LBB28_88:
	s_endpgm
	.section	.rodata,"a",@progbits
	.p2align	6, 0x0
	.amdhsa_kernel _ZN9rocsparseL12csrilu0_hashILj256ELj32ELj2E21rocsparse_complex_numIfEEEviPKiS4_PT2_S4_PiS4_S7_S7_d21rocsparse_index_base_imNS_24const_host_device_scalarIfEENS9_IdEENS9_IS5_EEb
		.amdhsa_group_segment_fixed_size 4096
		.amdhsa_private_segment_fixed_size 0
		.amdhsa_kernarg_size 124
		.amdhsa_user_sgpr_count 2
		.amdhsa_user_sgpr_dispatch_ptr 0
		.amdhsa_user_sgpr_queue_ptr 0
		.amdhsa_user_sgpr_kernarg_segment_ptr 1
		.amdhsa_user_sgpr_dispatch_id 0
		.amdhsa_user_sgpr_kernarg_preload_length 0
		.amdhsa_user_sgpr_kernarg_preload_offset 0
		.amdhsa_user_sgpr_private_segment_size 0
		.amdhsa_uses_dynamic_stack 0
		.amdhsa_enable_private_segment 0
		.amdhsa_system_sgpr_workgroup_id_x 1
		.amdhsa_system_sgpr_workgroup_id_y 0
		.amdhsa_system_sgpr_workgroup_id_z 0
		.amdhsa_system_sgpr_workgroup_info 0
		.amdhsa_system_vgpr_workitem_id 0
		.amdhsa_next_free_vgpr 26
		.amdhsa_next_free_sgpr 62
		.amdhsa_accum_offset 28
		.amdhsa_reserve_vcc 1
		.amdhsa_float_round_mode_32 0
		.amdhsa_float_round_mode_16_64 0
		.amdhsa_float_denorm_mode_32 3
		.amdhsa_float_denorm_mode_16_64 3
		.amdhsa_dx10_clamp 1
		.amdhsa_ieee_mode 1
		.amdhsa_fp16_overflow 0
		.amdhsa_tg_split 0
		.amdhsa_exception_fp_ieee_invalid_op 0
		.amdhsa_exception_fp_denorm_src 0
		.amdhsa_exception_fp_ieee_div_zero 0
		.amdhsa_exception_fp_ieee_overflow 0
		.amdhsa_exception_fp_ieee_underflow 0
		.amdhsa_exception_fp_ieee_inexact 0
		.amdhsa_exception_int_div_zero 0
	.end_amdhsa_kernel
	.section	.text._ZN9rocsparseL12csrilu0_hashILj256ELj32ELj2E21rocsparse_complex_numIfEEEviPKiS4_PT2_S4_PiS4_S7_S7_d21rocsparse_index_base_imNS_24const_host_device_scalarIfEENS9_IdEENS9_IS5_EEb,"axG",@progbits,_ZN9rocsparseL12csrilu0_hashILj256ELj32ELj2E21rocsparse_complex_numIfEEEviPKiS4_PT2_S4_PiS4_S7_S7_d21rocsparse_index_base_imNS_24const_host_device_scalarIfEENS9_IdEENS9_IS5_EEb,comdat
.Lfunc_end28:
	.size	_ZN9rocsparseL12csrilu0_hashILj256ELj32ELj2E21rocsparse_complex_numIfEEEviPKiS4_PT2_S4_PiS4_S7_S7_d21rocsparse_index_base_imNS_24const_host_device_scalarIfEENS9_IdEENS9_IS5_EEb, .Lfunc_end28-_ZN9rocsparseL12csrilu0_hashILj256ELj32ELj2E21rocsparse_complex_numIfEEEviPKiS4_PT2_S4_PiS4_S7_S7_d21rocsparse_index_base_imNS_24const_host_device_scalarIfEENS9_IdEENS9_IS5_EEb
                                        ; -- End function
	.set _ZN9rocsparseL12csrilu0_hashILj256ELj32ELj2E21rocsparse_complex_numIfEEEviPKiS4_PT2_S4_PiS4_S7_S7_d21rocsparse_index_base_imNS_24const_host_device_scalarIfEENS9_IdEENS9_IS5_EEb.num_vgpr, 26
	.set _ZN9rocsparseL12csrilu0_hashILj256ELj32ELj2E21rocsparse_complex_numIfEEEviPKiS4_PT2_S4_PiS4_S7_S7_d21rocsparse_index_base_imNS_24const_host_device_scalarIfEENS9_IdEENS9_IS5_EEb.num_agpr, 0
	.set _ZN9rocsparseL12csrilu0_hashILj256ELj32ELj2E21rocsparse_complex_numIfEEEviPKiS4_PT2_S4_PiS4_S7_S7_d21rocsparse_index_base_imNS_24const_host_device_scalarIfEENS9_IdEENS9_IS5_EEb.numbered_sgpr, 62
	.set _ZN9rocsparseL12csrilu0_hashILj256ELj32ELj2E21rocsparse_complex_numIfEEEviPKiS4_PT2_S4_PiS4_S7_S7_d21rocsparse_index_base_imNS_24const_host_device_scalarIfEENS9_IdEENS9_IS5_EEb.num_named_barrier, 0
	.set _ZN9rocsparseL12csrilu0_hashILj256ELj32ELj2E21rocsparse_complex_numIfEEEviPKiS4_PT2_S4_PiS4_S7_S7_d21rocsparse_index_base_imNS_24const_host_device_scalarIfEENS9_IdEENS9_IS5_EEb.private_seg_size, 0
	.set _ZN9rocsparseL12csrilu0_hashILj256ELj32ELj2E21rocsparse_complex_numIfEEEviPKiS4_PT2_S4_PiS4_S7_S7_d21rocsparse_index_base_imNS_24const_host_device_scalarIfEENS9_IdEENS9_IS5_EEb.uses_vcc, 1
	.set _ZN9rocsparseL12csrilu0_hashILj256ELj32ELj2E21rocsparse_complex_numIfEEEviPKiS4_PT2_S4_PiS4_S7_S7_d21rocsparse_index_base_imNS_24const_host_device_scalarIfEENS9_IdEENS9_IS5_EEb.uses_flat_scratch, 0
	.set _ZN9rocsparseL12csrilu0_hashILj256ELj32ELj2E21rocsparse_complex_numIfEEEviPKiS4_PT2_S4_PiS4_S7_S7_d21rocsparse_index_base_imNS_24const_host_device_scalarIfEENS9_IdEENS9_IS5_EEb.has_dyn_sized_stack, 0
	.set _ZN9rocsparseL12csrilu0_hashILj256ELj32ELj2E21rocsparse_complex_numIfEEEviPKiS4_PT2_S4_PiS4_S7_S7_d21rocsparse_index_base_imNS_24const_host_device_scalarIfEENS9_IdEENS9_IS5_EEb.has_recursion, 0
	.set _ZN9rocsparseL12csrilu0_hashILj256ELj32ELj2E21rocsparse_complex_numIfEEEviPKiS4_PT2_S4_PiS4_S7_S7_d21rocsparse_index_base_imNS_24const_host_device_scalarIfEENS9_IdEENS9_IS5_EEb.has_indirect_call, 0
	.section	.AMDGPU.csdata,"",@progbits
; Kernel info:
; codeLenInByte = 3052
; TotalNumSgprs: 68
; NumVgprs: 26
; NumAgprs: 0
; TotalNumVgprs: 26
; ScratchSize: 0
; MemoryBound: 0
; FloatMode: 240
; IeeeMode: 1
; LDSByteSize: 4096 bytes/workgroup (compile time only)
; SGPRBlocks: 8
; VGPRBlocks: 3
; NumSGPRsForWavesPerEU: 68
; NumVGPRsForWavesPerEU: 26
; AccumOffset: 28
; Occupancy: 8
; WaveLimiterHint : 1
; COMPUTE_PGM_RSRC2:SCRATCH_EN: 0
; COMPUTE_PGM_RSRC2:USER_SGPR: 2
; COMPUTE_PGM_RSRC2:TRAP_HANDLER: 0
; COMPUTE_PGM_RSRC2:TGID_X_EN: 1
; COMPUTE_PGM_RSRC2:TGID_Y_EN: 0
; COMPUTE_PGM_RSRC2:TGID_Z_EN: 0
; COMPUTE_PGM_RSRC2:TIDIG_COMP_CNT: 0
; COMPUTE_PGM_RSRC3_GFX90A:ACCUM_OFFSET: 6
; COMPUTE_PGM_RSRC3_GFX90A:TG_SPLIT: 0
	.section	.text._ZN9rocsparseL12csrilu0_hashILj256ELj32ELj4E21rocsparse_complex_numIfEEEviPKiS4_PT2_S4_PiS4_S7_S7_d21rocsparse_index_base_imNS_24const_host_device_scalarIfEENS9_IdEENS9_IS5_EEb,"axG",@progbits,_ZN9rocsparseL12csrilu0_hashILj256ELj32ELj4E21rocsparse_complex_numIfEEEviPKiS4_PT2_S4_PiS4_S7_S7_d21rocsparse_index_base_imNS_24const_host_device_scalarIfEENS9_IdEENS9_IS5_EEb,comdat
	.globl	_ZN9rocsparseL12csrilu0_hashILj256ELj32ELj4E21rocsparse_complex_numIfEEEviPKiS4_PT2_S4_PiS4_S7_S7_d21rocsparse_index_base_imNS_24const_host_device_scalarIfEENS9_IdEENS9_IS5_EEb ; -- Begin function _ZN9rocsparseL12csrilu0_hashILj256ELj32ELj4E21rocsparse_complex_numIfEEEviPKiS4_PT2_S4_PiS4_S7_S7_d21rocsparse_index_base_imNS_24const_host_device_scalarIfEENS9_IdEENS9_IS5_EEb
	.p2align	8
	.type	_ZN9rocsparseL12csrilu0_hashILj256ELj32ELj4E21rocsparse_complex_numIfEEEviPKiS4_PT2_S4_PiS4_S7_S7_d21rocsparse_index_base_imNS_24const_host_device_scalarIfEENS9_IdEENS9_IS5_EEb,@function
_ZN9rocsparseL12csrilu0_hashILj256ELj32ELj4E21rocsparse_complex_numIfEEEviPKiS4_PT2_S4_PiS4_S7_S7_d21rocsparse_index_base_imNS_24const_host_device_scalarIfEENS9_IdEENS9_IS5_EEb: ; @_ZN9rocsparseL12csrilu0_hashILj256ELj32ELj4E21rocsparse_complex_numIfEEEviPKiS4_PT2_S4_PiS4_S7_S7_d21rocsparse_index_base_imNS_24const_host_device_scalarIfEENS9_IdEENS9_IS5_EEb
; %bb.0:
	s_load_dword s3, s[0:1], 0x78
	s_load_dwordx2 s[34:35], s[0:1], 0x50
	s_load_dwordx8 s[24:31], s[0:1], 0x58
	s_waitcnt lgkmcnt(0)
	s_bitcmp1_b32 s3, 0
	s_cselect_b64 s[4:5], -1, 0
	s_cmp_eq_u32 s35, 0
	s_cselect_b64 s[12:13], -1, 0
	s_cmp_lg_u32 s35, 0
	s_cselect_b64 s[8:9], -1, 0
	s_or_b64 s[14:15], s[12:13], s[4:5]
	s_xor_b64 s[6:7], s[14:15], -1
	s_and_b64 s[10:11], s[12:13], exec
	s_cselect_b32 s11, 0, s29
	s_cselect_b32 s10, 0, s28
	s_and_b64 vcc, exec, s[14:15]
	s_cbranch_vccnz .LBB29_2
; %bb.1:
	s_load_dword s3, s[26:27], 0x0
	s_mov_b64 s[10:11], s[28:29]
	s_waitcnt lgkmcnt(0)
	v_mov_b32_e32 v17, s3
	s_andn2_b64 vcc, exec, s[6:7]
	v_mov_b64_e32 v[2:3], s[10:11]
	s_cbranch_vccz .LBB29_3
	s_branch .LBB29_4
.LBB29_2:
	v_mov_b32_e32 v1, s26
	v_cndmask_b32_e64 v17, v1, 0, s[12:13]
	s_andn2_b64 vcc, exec, s[6:7]
	v_mov_b64_e32 v[2:3], s[10:11]
	s_cbranch_vccnz .LBB29_4
.LBB29_3:
	v_mov_b64_e32 v[2:3], s[28:29]
	flat_load_dwordx2 v[2:3], v[2:3]
.LBB29_4:
	v_cndmask_b32_e64 v1, 0, 1, s[8:9]
	s_mov_b32 s33, 0
	v_cmp_ne_u32_e64 s[6:7], 1, v1
	s_andn2_b64 vcc, exec, s[8:9]
	s_mov_b32 s35, 0
	s_cbranch_vccnz .LBB29_10
; %bb.5:
	s_xor_b64 s[8:9], s[4:5], -1
	v_cndmask_b32_e64 v1, 0, 1, s[8:9]
	v_cmp_ne_u32_e64 s[4:5], 1, v1
	s_andn2_b64 vcc, exec, s[8:9]
	s_mov_b32 s33, s30
	s_cbranch_vccnz .LBB29_7
; %bb.6:
	s_load_dword s33, s[30:31], 0x0
.LBB29_7:
	s_and_b64 vcc, exec, s[4:5]
	s_cbranch_vccnz .LBB29_9
; %bb.8:
	s_load_dword s31, s[30:31], 0x4
.LBB29_9:
	s_waitcnt lgkmcnt(0)
	s_mov_b32 s35, s31
.LBB29_10:
	s_load_dword s3, s[0:1], 0x0
	v_lshlrev_b32_e32 v1, 2, v0
	s_lshl_b32 s2, s2, 3
	v_and_b32_e32 v16, 31, v0
	v_and_b32_e32 v6, 0x380, v1
	v_mov_b32_e32 v1, 0x1000
	v_lshrrev_b32_e32 v0, 5, v0
	s_and_b32 s2, s2, 0x7fffff8
	v_lshl_or_b32 v5, v6, 2, v1
	v_or_b32_e32 v0, s2, v0
	v_lshl_or_b32 v1, v16, 2, v5
	v_mov_b32_e32 v4, -1
	s_waitcnt lgkmcnt(0)
	v_cmp_gt_i32_e32 vcc, s3, v0
	ds_write2_b32 v1, v4, v4 offset1:32
	ds_write2_b32 v1, v4, v4 offset0:64 offset1:96
	s_waitcnt lgkmcnt(0)
	s_and_saveexec_b64 s[2:3], vcc
	s_cbranch_execz .LBB29_88
; %bb.11:
	s_load_dwordx16 s[8:23], s[0:1], 0x8
	v_lshlrev_b32_e32 v0, 2, v0
	v_lshlrev_b32_e32 v18, 2, v6
	s_waitcnt lgkmcnt(0)
	global_load_dword v0, v0, s[18:19]
	s_waitcnt vmcnt(0)
	v_ashrrev_i32_e32 v1, 31, v0
	v_lshlrev_b64 v[8:9], 2, v[0:1]
	v_lshl_add_u64 v[10:11], s[8:9], 0, v[8:9]
	global_load_dwordx2 v[10:11], v[10:11], off
	v_lshl_add_u64 v[8:9], s[14:15], 0, v[8:9]
	global_load_dword v4, v[8:9], off
	s_waitcnt vmcnt(1)
	v_subrev_u32_e32 v6, s34, v10
	v_subrev_u32_e32 v7, s34, v11
	v_add_u32_e32 v8, v6, v16
	v_cmp_lt_i32_e32 vcc, v8, v7
	s_and_saveexec_b64 s[2:3], vcc
	s_cbranch_execz .LBB29_34
; %bb.12:
	s_mov_b64 s[4:5], 0
	s_movk_i32 s56, 0x67
	v_mov_b32_e32 v10, -1
	s_branch .LBB29_14
.LBB29_13:                              ;   in Loop: Header=BB29_14 Depth=1
	s_or_b64 exec, exec, s[18:19]
	v_add_u32_e32 v8, 32, v8
	v_cmp_ge_i32_e32 vcc, v8, v7
	s_or_b64 s[4:5], vcc, s[4:5]
	s_andn2_b64 exec, exec, s[4:5]
	s_cbranch_execz .LBB29_34
.LBB29_14:                              ; =>This Loop Header: Depth=1
                                        ;     Child Loop BB29_23 Depth 2
	v_ashrrev_i32_e32 v9, 31, v8
	v_lshl_add_u64 v[12:13], v[8:9], 2, s[10:11]
	global_load_dword v9, v[12:13], off
	v_mov_b32_e32 v11, 0x80
	s_mov_b64 s[26:27], 0
                                        ; implicit-def: $sgpr18_sgpr19
                                        ; implicit-def: $sgpr28_sgpr29
                                        ; implicit-def: $sgpr30_sgpr31
	s_waitcnt vmcnt(0)
	v_mul_lo_u32 v13, v9, s56
	s_branch .LBB29_23
.LBB29_15:                              ;   in Loop: Header=BB29_23 Depth=2
	s_or_b64 exec, exec, s[54:55]
	s_orn2_b64 s[50:51], s[50:51], exec
	s_orn2_b64 s[52:53], s[52:53], exec
.LBB29_16:                              ;   in Loop: Header=BB29_23 Depth=2
	s_or_b64 exec, exec, s[48:49]
	s_and_b64 s[50:51], s[50:51], exec
	s_orn2_b64 s[48:49], s[52:53], exec
.LBB29_17:                              ;   in Loop: Header=BB29_23 Depth=2
	s_or_b64 exec, exec, s[46:47]
	s_orn2_b64 s[50:51], s[50:51], exec
	s_orn2_b64 s[46:47], s[48:49], exec
.LBB29_18:                              ;   in Loop: Header=BB29_23 Depth=2
	s_or_b64 exec, exec, s[44:45]
	s_and_b64 s[48:49], s[50:51], exec
	s_orn2_b64 s[44:45], s[46:47], exec
.LBB29_19:                              ;   in Loop: Header=BB29_23 Depth=2
	s_or_b64 exec, exec, s[42:43]
	s_orn2_b64 s[42:43], s[48:49], exec
	s_orn2_b64 s[44:45], s[44:45], exec
.LBB29_20:                              ;   in Loop: Header=BB29_23 Depth=2
	s_or_b64 exec, exec, s[40:41]
	s_and_b64 s[42:43], s[42:43], exec
	s_orn2_b64 s[40:41], s[44:45], exec
.LBB29_21:                              ;   in Loop: Header=BB29_23 Depth=2
	s_or_b64 exec, exec, s[38:39]
	s_andn2_b64 s[30:31], s[30:31], exec
	s_and_b64 s[38:39], s[42:43], exec
	s_or_b64 s[30:31], s[30:31], s[38:39]
	s_andn2_b64 s[28:29], s[28:29], exec
	s_and_b64 s[38:39], s[40:41], exec
	s_or_b64 s[28:29], s[28:29], s[38:39]
.LBB29_22:                              ;   in Loop: Header=BB29_23 Depth=2
	s_or_b64 exec, exec, s[36:37]
	s_and_b64 s[36:37], exec, s[28:29]
	s_or_b64 s[26:27], s[36:37], s[26:27]
	s_andn2_b64 s[18:19], s[18:19], exec
	s_and_b64 s[36:37], s[30:31], exec
	s_or_b64 s[18:19], s[18:19], s[36:37]
	s_andn2_b64 exec, exec, s[26:27]
	s_cbranch_execz .LBB29_32
.LBB29_23:                              ;   Parent Loop BB29_14 Depth=1
                                        ; =>  This Inner Loop Header: Depth=2
	v_and_b32_e32 v12, 0x7f, v13
	v_lshl_add_u32 v14, v12, 2, v5
	ds_read_b32 v15, v14
	s_or_b64 s[30:31], s[30:31], exec
	s_or_b64 s[28:29], s[28:29], exec
	s_waitcnt lgkmcnt(0)
	v_cmp_ne_u32_e32 vcc, v15, v9
	s_and_saveexec_b64 s[36:37], vcc
	s_cbranch_execz .LBB29_22
; %bb.24:                               ;   in Loop: Header=BB29_23 Depth=2
	ds_cmpst_rtn_b32 v14, v14, v10, v9
	s_mov_b64 s[40:41], -1
	s_mov_b64 s[42:43], 0
	s_waitcnt lgkmcnt(0)
	v_cmp_ne_u32_e32 vcc, -1, v14
	s_and_saveexec_b64 s[38:39], vcc
	s_cbranch_execz .LBB29_21
; %bb.25:                               ;   in Loop: Header=BB29_23 Depth=2
	v_add_u32_e32 v12, 1, v13
	v_and_b32_e32 v12, 0x7f, v12
	v_lshl_add_u32 v14, v12, 2, v5
	ds_read_b32 v15, v14
	s_mov_b64 s[44:45], -1
	s_mov_b64 s[42:43], -1
	s_waitcnt lgkmcnt(0)
	v_cmp_ne_u32_e32 vcc, v15, v9
	s_and_saveexec_b64 s[40:41], vcc
	s_cbranch_execz .LBB29_20
; %bb.26:                               ;   in Loop: Header=BB29_23 Depth=2
	ds_cmpst_rtn_b32 v14, v14, v10, v9
	s_mov_b64 s[48:49], 0
	s_waitcnt lgkmcnt(0)
	v_cmp_ne_u32_e32 vcc, -1, v14
	s_and_saveexec_b64 s[42:43], vcc
	s_cbranch_execz .LBB29_19
; %bb.27:                               ;   in Loop: Header=BB29_23 Depth=2
	v_add_u32_e32 v12, 2, v13
	v_and_b32_e32 v12, 0x7f, v12
	v_lshl_add_u32 v14, v12, 2, v5
	ds_read_b32 v15, v14
	s_mov_b64 s[46:47], -1
	s_mov_b64 s[50:51], -1
	s_waitcnt lgkmcnt(0)
	v_cmp_ne_u32_e32 vcc, v15, v9
	s_and_saveexec_b64 s[44:45], vcc
	s_cbranch_execz .LBB29_18
; %bb.28:                               ;   in Loop: Header=BB29_23 Depth=2
	ds_cmpst_rtn_b32 v14, v14, v10, v9
	s_mov_b64 s[48:49], -1
	s_mov_b64 s[50:51], 0
	s_waitcnt lgkmcnt(0)
	v_cmp_ne_u32_e32 vcc, -1, v14
	s_and_saveexec_b64 s[46:47], vcc
	s_cbranch_execz .LBB29_17
; %bb.29:                               ;   in Loop: Header=BB29_23 Depth=2
	v_add_u32_e32 v12, 3, v13
	v_and_b32_e32 v12, 0x7f, v12
	v_lshl_add_u32 v14, v12, 2, v5
	ds_read_b32 v13, v14
	s_mov_b64 s[52:53], -1
	s_mov_b64 s[50:51], -1
	s_waitcnt lgkmcnt(0)
	v_cmp_ne_u32_e32 vcc, v13, v9
                                        ; implicit-def: $vgpr13
	s_and_saveexec_b64 s[48:49], vcc
	s_cbranch_execz .LBB29_16
; %bb.30:                               ;   in Loop: Header=BB29_23 Depth=2
	ds_cmpst_rtn_b32 v13, v14, v10, v9
	s_mov_b64 s[50:51], 0
	s_waitcnt lgkmcnt(0)
	v_cmp_ne_u32_e32 vcc, -1, v13
                                        ; implicit-def: $vgpr13
	s_and_saveexec_b64 s[54:55], vcc
	s_cbranch_execz .LBB29_15
; %bb.31:                               ;   in Loop: Header=BB29_23 Depth=2
	v_add_u32_e32 v11, -4, v11
	v_cmp_eq_u32_e32 vcc, 0, v11
	s_mov_b64 s[50:51], exec
	v_add_u32_e32 v13, 1, v12
	s_orn2_b64 s[52:53], vcc, exec
	s_branch .LBB29_15
.LBB29_32:                              ;   in Loop: Header=BB29_14 Depth=1
	s_or_b64 exec, exec, s[26:27]
	s_xor_b64 s[18:19], s[18:19], -1
	s_and_saveexec_b64 s[26:27], s[18:19]
	s_xor_b64 s[18:19], exec, s[26:27]
	s_cbranch_execz .LBB29_13
; %bb.33:                               ;   in Loop: Header=BB29_14 Depth=1
	v_lshl_add_u32 v9, v12, 2, v18
	ds_write_b32 v9, v8
	s_branch .LBB29_13
.LBB29_34:
	s_or_b64 exec, exec, s[2:3]
	s_waitcnt vmcnt(0)
	v_cmp_lt_i32_e32 vcc, v6, v4
	s_waitcnt lgkmcnt(0)
	s_and_saveexec_b64 s[4:5], vcc
	s_cbranch_execz .LBB29_64
; %bb.35:
	v_add_u32_e32 v19, 1, v16
	s_mov_b64 s[18:19], 0
	s_movk_i32 s62, 0x67
	s_branch .LBB29_38
.LBB29_36:                              ;   in Loop: Header=BB29_38 Depth=1
	s_or_b64 exec, exec, s[26:27]
	v_add_u32_e32 v6, 1, v6
	v_cmp_ge_i32_e32 vcc, v6, v4
	s_orn2_b64 s[26:27], vcc, exec
.LBB29_37:                              ;   in Loop: Header=BB29_38 Depth=1
	s_or_b64 exec, exec, s[2:3]
	s_and_b64 s[2:3], exec, s[26:27]
	s_or_b64 s[18:19], s[2:3], s[18:19]
	s_andn2_b64 exec, exec, s[18:19]
	s_cbranch_execz .LBB29_64
.LBB29_38:                              ; =>This Loop Header: Depth=1
                                        ;     Child Loop BB29_39 Depth 2
                                        ;     Child Loop BB29_44 Depth 2
                                        ;       Child Loop BB29_53 Depth 3
	v_ashrrev_i32_e32 v7, 31, v6
	v_lshl_add_u64 v[8:9], v[6:7], 2, s[10:11]
	global_load_dword v12, v[8:9], off
	v_lshl_add_u64 v[10:11], v[6:7], 3, s[12:13]
	global_load_dwordx2 v[8:9], v[10:11], off
	s_mov_b64 s[2:3], 0
	s_waitcnt vmcnt(1)
	v_subrev_u32_e32 v12, s34, v12
	v_ashrrev_i32_e32 v13, 31, v12
	v_lshlrev_b64 v[12:13], 2, v[12:13]
	v_lshl_add_u64 v[20:21], s[8:9], 0, v[12:13]
	v_lshl_add_u64 v[22:23], s[14:15], 0, v[12:13]
	global_load_dword v7, v[20:21], off offset:4
	global_load_dword v14, v[22:23], off
	v_lshl_add_u64 v[12:13], s[16:17], 0, v[12:13]
.LBB29_39:                              ;   Parent Loop BB29_38 Depth=1
                                        ; =>  This Inner Loop Header: Depth=2
	global_load_dword v15, v[12:13], off sc1
	s_waitcnt vmcnt(0)
	v_cmp_ne_u32_e32 vcc, 0, v15
	s_or_b64 s[2:3], vcc, s[2:3]
	s_andn2_b64 exec, exec, s[2:3]
	s_cbranch_execnz .LBB29_39
; %bb.40:                               ;   in Loop: Header=BB29_38 Depth=1
	s_or_b64 exec, exec, s[2:3]
	v_subrev_u32_e32 v7, s34, v7
	v_add_u32_e32 v12, -1, v7
	v_cmp_eq_u32_e32 vcc, -1, v14
	buffer_inv sc1
	s_mov_b64 s[26:27], -1
	v_cndmask_b32_e32 v12, v14, v12, vcc
	v_ashrrev_i32_e32 v13, 31, v12
	v_lshl_add_u64 v[14:15], v[12:13], 3, s[12:13]
	global_load_dwordx2 v[14:15], v[14:15], off
	s_waitcnt vmcnt(0)
	v_cmp_neq_f32_e32 vcc, 0, v14
	v_cmp_neq_f32_e64 s[2:3], 0, v15
	s_or_b64 s[28:29], vcc, s[2:3]
	s_and_saveexec_b64 s[2:3], s[28:29]
	s_cbranch_execz .LBB29_37
; %bb.41:                               ;   in Loop: Header=BB29_38 Depth=1
	v_mul_f32_e32 v13, v15, v15
	v_fmac_f32_e32 v13, v14, v14
	v_div_scale_f32 v20, s[26:27], v13, v13, 1.0
	v_rcp_f32_e32 v21, v20
	v_div_scale_f32 v22, vcc, 1.0, v13, 1.0
	v_fma_f32 v23, -v20, v21, 1.0
	v_fmac_f32_e32 v21, v23, v21
	v_mul_f32_e32 v23, v22, v21
	v_fma_f32 v24, -v20, v23, v22
	v_fmac_f32_e32 v23, v24, v21
	v_fma_f32 v20, -v20, v23, v22
	v_div_fmas_f32 v20, v20, v21, v23
	v_xor_b32_e32 v23, 0x80000000, v8
	v_mov_b32_e32 v22, v9
	v_mov_b32_e32 v24, v15
	v_pk_mul_f32 v[22:23], v[22:23], v[24:25] op_sel_hi:[1,0]
	v_div_fixup_f32 v20, v20, v13, 1.0
	v_pk_fma_f32 v[8:9], v[8:9], v[14:15], v[22:23] op_sel_hi:[1,0,1]
	s_nop 0
	v_pk_mul_f32 v[8:9], v[8:9], v[20:21] op_sel_hi:[1,0]
	global_store_dwordx2 v[10:11], v[8:9], off
	v_add_u32_e32 v10, v19, v12
	v_cmp_lt_i32_e32 vcc, v10, v7
	s_and_saveexec_b64 s[26:27], vcc
	s_cbranch_execz .LBB29_36
; %bb.42:                               ;   in Loop: Header=BB29_38 Depth=1
	v_pk_add_f32 v[12:13], v[8:9], 0 neg_lo:[1,1] neg_hi:[1,1]
	s_mov_b64 s[28:29], 0
	v_pk_mov_b32 v[12:13], v[8:9], v[12:13] op_sel:[1,0]
	s_branch .LBB29_44
.LBB29_43:                              ;   in Loop: Header=BB29_44 Depth=2
	s_or_b64 exec, exec, s[30:31]
	v_add_u32_e32 v10, 32, v10
	v_cmp_ge_i32_e32 vcc, v10, v7
	s_or_b64 s[28:29], vcc, s[28:29]
	s_andn2_b64 exec, exec, s[28:29]
	s_cbranch_execz .LBB29_36
.LBB29_44:                              ;   Parent Loop BB29_38 Depth=1
                                        ; =>  This Loop Header: Depth=2
                                        ;       Child Loop BB29_53 Depth 3
	v_ashrrev_i32_e32 v11, 31, v10
	v_lshl_add_u64 v[14:15], v[10:11], 2, s[10:11]
	global_load_dword v14, v[14:15], off
	v_mov_b32_e32 v15, 0x80
	s_mov_b64 s[36:37], 0
                                        ; implicit-def: $sgpr30_sgpr31
                                        ; implicit-def: $sgpr38_sgpr39
                                        ; implicit-def: $sgpr40_sgpr41
	s_waitcnt vmcnt(0)
	v_mul_lo_u32 v21, v14, s62
	s_branch .LBB29_53
.LBB29_45:                              ;   in Loop: Header=BB29_53 Depth=3
	s_or_b64 exec, exec, s[60:61]
	s_orn2_b64 s[56:57], s[56:57], exec
	s_orn2_b64 s[58:59], s[58:59], exec
.LBB29_46:                              ;   in Loop: Header=BB29_53 Depth=3
	s_or_b64 exec, exec, s[54:55]
	s_and_b64 s[56:57], s[56:57], exec
	s_orn2_b64 s[54:55], s[58:59], exec
.LBB29_47:                              ;   in Loop: Header=BB29_53 Depth=3
	s_or_b64 exec, exec, s[52:53]
	s_orn2_b64 s[56:57], s[56:57], exec
	s_orn2_b64 s[52:53], s[54:55], exec
.LBB29_48:                              ;   in Loop: Header=BB29_53 Depth=3
	s_or_b64 exec, exec, s[50:51]
	s_and_b64 s[54:55], s[56:57], exec
	s_orn2_b64 s[50:51], s[52:53], exec
.LBB29_49:                              ;   in Loop: Header=BB29_53 Depth=3
	s_or_b64 exec, exec, s[48:49]
	s_orn2_b64 s[48:49], s[54:55], exec
	s_orn2_b64 s[50:51], s[50:51], exec
.LBB29_50:                              ;   in Loop: Header=BB29_53 Depth=3
	s_or_b64 exec, exec, s[46:47]
	s_and_b64 s[48:49], s[48:49], exec
	s_orn2_b64 s[46:47], s[50:51], exec
.LBB29_51:                              ;   in Loop: Header=BB29_53 Depth=3
	s_or_b64 exec, exec, s[44:45]
	s_andn2_b64 s[40:41], s[40:41], exec
	s_and_b64 s[44:45], s[48:49], exec
	s_or_b64 s[40:41], s[40:41], s[44:45]
	s_andn2_b64 s[38:39], s[38:39], exec
	s_and_b64 s[44:45], s[46:47], exec
	s_or_b64 s[38:39], s[38:39], s[44:45]
.LBB29_52:                              ;   in Loop: Header=BB29_53 Depth=3
	s_or_b64 exec, exec, s[42:43]
	s_and_b64 s[42:43], exec, s[38:39]
	s_or_b64 s[36:37], s[42:43], s[36:37]
	s_andn2_b64 s[30:31], s[30:31], exec
	s_and_b64 s[42:43], s[40:41], exec
	s_or_b64 s[30:31], s[30:31], s[42:43]
	s_andn2_b64 exec, exec, s[36:37]
	s_cbranch_execz .LBB29_62
.LBB29_53:                              ;   Parent Loop BB29_38 Depth=1
                                        ;     Parent Loop BB29_44 Depth=2
                                        ; =>    This Inner Loop Header: Depth=3
	v_and_b32_e32 v20, 0x7f, v21
	v_lshl_add_u32 v22, v20, 2, v5
	ds_read_b32 v22, v22
	s_or_b64 s[40:41], s[40:41], exec
	s_or_b64 s[38:39], s[38:39], exec
	s_waitcnt lgkmcnt(0)
	v_cmp_ne_u32_e32 vcc, -1, v22
	s_and_saveexec_b64 s[42:43], vcc
	s_cbranch_execz .LBB29_52
; %bb.54:                               ;   in Loop: Header=BB29_53 Depth=3
	v_cmp_ne_u32_e32 vcc, v22, v14
	s_mov_b64 s[46:47], -1
	s_mov_b64 s[48:49], 0
	s_and_saveexec_b64 s[44:45], vcc
	s_cbranch_execz .LBB29_51
; %bb.55:                               ;   in Loop: Header=BB29_53 Depth=3
	v_add_u32_e32 v20, 1, v21
	v_and_b32_e32 v20, 0x7f, v20
	v_lshl_add_u32 v22, v20, 2, v5
	ds_read_b32 v22, v22
	s_mov_b64 s[50:51], -1
	s_mov_b64 s[48:49], -1
	s_waitcnt lgkmcnt(0)
	v_cmp_ne_u32_e32 vcc, -1, v22
	s_and_saveexec_b64 s[46:47], vcc
	s_cbranch_execz .LBB29_50
; %bb.56:                               ;   in Loop: Header=BB29_53 Depth=3
	v_cmp_ne_u32_e32 vcc, v22, v14
	s_mov_b64 s[54:55], 0
	s_and_saveexec_b64 s[48:49], vcc
	s_cbranch_execz .LBB29_49
; %bb.57:                               ;   in Loop: Header=BB29_53 Depth=3
	v_add_u32_e32 v20, 2, v21
	v_and_b32_e32 v20, 0x7f, v20
	v_lshl_add_u32 v22, v20, 2, v5
	ds_read_b32 v22, v22
	s_mov_b64 s[52:53], -1
	s_mov_b64 s[56:57], -1
	s_waitcnt lgkmcnt(0)
	v_cmp_ne_u32_e32 vcc, -1, v22
	s_and_saveexec_b64 s[50:51], vcc
	s_cbranch_execz .LBB29_48
; %bb.58:                               ;   in Loop: Header=BB29_53 Depth=3
	v_cmp_ne_u32_e32 vcc, v22, v14
	s_mov_b64 s[54:55], -1
	s_mov_b64 s[56:57], 0
	s_and_saveexec_b64 s[52:53], vcc
	s_cbranch_execz .LBB29_47
; %bb.59:                               ;   in Loop: Header=BB29_53 Depth=3
	v_add_u32_e32 v20, 3, v21
	v_and_b32_e32 v20, 0x7f, v20
	v_lshl_add_u32 v21, v20, 2, v5
	ds_read_b32 v22, v21
	s_mov_b64 s[58:59], -1
	s_mov_b64 s[56:57], -1
                                        ; implicit-def: $vgpr21
	s_waitcnt lgkmcnt(0)
	v_cmp_ne_u32_e32 vcc, -1, v22
	s_and_saveexec_b64 s[54:55], vcc
	s_cbranch_execz .LBB29_46
; %bb.60:                               ;   in Loop: Header=BB29_53 Depth=3
	v_cmp_ne_u32_e32 vcc, v22, v14
	s_mov_b64 s[56:57], 0
                                        ; implicit-def: $vgpr21
	s_and_saveexec_b64 s[60:61], vcc
	s_cbranch_execz .LBB29_45
; %bb.61:                               ;   in Loop: Header=BB29_53 Depth=3
	v_add_u32_e32 v15, -4, v15
	v_cmp_eq_u32_e32 vcc, 0, v15
	s_mov_b64 s[56:57], exec
	v_add_u32_e32 v21, 1, v20
	s_orn2_b64 s[58:59], vcc, exec
	s_branch .LBB29_45
.LBB29_62:                              ;   in Loop: Header=BB29_44 Depth=2
	s_or_b64 exec, exec, s[36:37]
	s_xor_b64 s[30:31], s[30:31], -1
	s_and_saveexec_b64 s[36:37], s[30:31]
	s_xor_b64 s[30:31], exec, s[36:37]
	s_cbranch_execz .LBB29_43
; %bb.63:                               ;   in Loop: Header=BB29_44 Depth=2
	v_lshl_add_u32 v14, v20, 2, v18
	ds_read_b32 v14, v14
	v_lshl_add_u64 v[20:21], v[10:11], 3, s[12:13]
	s_waitcnt lgkmcnt(0)
	v_ashrrev_i32_e32 v15, 31, v14
	v_lshl_add_u64 v[14:15], v[14:15], 3, s[12:13]
	global_load_dwordx2 v[22:23], v[20:21], off
	global_load_dwordx2 v[24:25], v[14:15], off
	s_waitcnt vmcnt(0)
	v_pk_fma_f32 v[20:21], v[8:9], v[22:23], v[24:25] op_sel_hi:[1,0,1] neg_lo:[1,0,0] neg_hi:[1,0,0]
	s_nop 0
	v_pk_fma_f32 v[20:21], v[12:13], v[22:23], v[20:21] op_sel:[0,1,0]
	global_store_dwordx2 v[14:15], v[20:21], off
	s_branch .LBB29_43
.LBB29_64:
	s_or_b64 exec, exec, s[4:5]
	v_cmp_lt_i32_e32 vcc, -1, v4
	s_and_saveexec_b64 s[8:9], vcc
	s_cbranch_execz .LBB29_86
; %bb.65:
	v_mov_b32_e32 v5, 0
	v_lshl_add_u64 v[8:9], v[4:5], 3, s[12:13]
	global_load_dwordx2 v[6:7], v[8:9], off
	s_waitcnt vmcnt(0)
	v_cmp_gt_f32_e32 vcc, 0, v6
	s_nop 1
	v_cndmask_b32_e64 v4, v6, -v6, vcc
	v_cmp_gt_f32_e32 vcc, 0, v7
	s_nop 1
	v_cndmask_b32_e64 v10, v7, -v7, vcc
	v_cmp_ngt_f32_e32 vcc, v4, v10
	s_and_saveexec_b64 s[2:3], vcc
	s_xor_b64 s[4:5], exec, s[2:3]
	s_cbranch_execz .LBB29_69
; %bb.66:
	v_cmp_neq_f32_e32 vcc, 0, v7
	s_and_saveexec_b64 s[10:11], vcc
	s_cbranch_execz .LBB29_68
; %bb.67:
	v_div_scale_f32 v5, s[2:3], v10, v10, v4
	v_rcp_f32_e32 v11, v5
	v_div_scale_f32 v12, vcc, v4, v10, v4
	s_mov_b32 s2, 0xf800000
	v_fma_f32 v13, -v5, v11, 1.0
	v_fmac_f32_e32 v11, v13, v11
	v_mul_f32_e32 v13, v12, v11
	v_fma_f32 v14, -v5, v13, v12
	v_fmac_f32_e32 v13, v14, v11
	v_fma_f32 v5, -v5, v13, v12
	v_div_fmas_f32 v5, v5, v11, v13
	v_div_fixup_f32 v4, v5, v10, v4
	v_fma_f32 v4, v4, v4, 1.0
	v_mul_f32_e32 v5, 0x4f800000, v4
	v_cmp_gt_f32_e32 vcc, s2, v4
	s_nop 1
	v_cndmask_b32_e32 v4, v4, v5, vcc
	v_sqrt_f32_e32 v5, v4
	s_nop 0
	v_add_u32_e32 v11, -1, v5
	v_fma_f32 v12, -v11, v5, v4
	v_cmp_ge_f32_e64 s[2:3], 0, v12
	v_add_u32_e32 v12, 1, v5
	s_nop 0
	v_cndmask_b32_e64 v11, v5, v11, s[2:3]
	v_fma_f32 v5, -v12, v5, v4
	v_cmp_lt_f32_e64 s[2:3], 0, v5
	s_nop 1
	v_cndmask_b32_e64 v5, v11, v12, s[2:3]
	v_mul_f32_e32 v11, 0x37800000, v5
	v_cndmask_b32_e32 v5, v5, v11, vcc
	v_mov_b32_e32 v11, 0x260
	v_cmp_class_f32_e32 vcc, v4, v11
	s_nop 1
	v_cndmask_b32_e32 v4, v5, v4, vcc
	v_mul_f32_e32 v5, v10, v4
.LBB29_68:
	s_or_b64 exec, exec, s[10:11]
                                        ; implicit-def: $vgpr4
                                        ; implicit-def: $vgpr10
.LBB29_69:
	s_andn2_saveexec_b64 s[4:5], s[4:5]
	s_cbranch_execz .LBB29_71
; %bb.70:
	v_div_scale_f32 v5, s[2:3], v4, v4, v10
	v_rcp_f32_e32 v11, v5
	v_div_scale_f32 v12, vcc, v10, v4, v10
	s_mov_b32 s2, 0xf800000
	v_fma_f32 v13, -v5, v11, 1.0
	v_fmac_f32_e32 v11, v13, v11
	v_mul_f32_e32 v13, v12, v11
	v_fma_f32 v14, -v5, v13, v12
	v_fmac_f32_e32 v13, v14, v11
	v_fma_f32 v5, -v5, v13, v12
	v_div_fmas_f32 v5, v5, v11, v13
	v_div_fixup_f32 v5, v5, v4, v10
	v_fma_f32 v5, v5, v5, 1.0
	v_mul_f32_e32 v10, 0x4f800000, v5
	v_cmp_gt_f32_e32 vcc, s2, v5
	s_nop 1
	v_cndmask_b32_e32 v5, v5, v10, vcc
	v_sqrt_f32_e32 v10, v5
	s_nop 0
	v_add_u32_e32 v11, -1, v10
	v_fma_f32 v12, -v11, v10, v5
	v_cmp_ge_f32_e64 s[2:3], 0, v12
	v_add_u32_e32 v12, 1, v10
	s_nop 0
	v_cndmask_b32_e64 v11, v10, v11, s[2:3]
	v_fma_f32 v10, -v12, v10, v5
	v_cmp_lt_f32_e64 s[2:3], 0, v10
	s_nop 1
	v_cndmask_b32_e64 v10, v11, v12, s[2:3]
	v_mul_f32_e32 v11, 0x37800000, v10
	v_cndmask_b32_e32 v10, v10, v11, vcc
	v_mov_b32_e32 v11, 0x260
	v_cmp_class_f32_e32 vcc, v5, v11
	s_nop 1
	v_cndmask_b32_e32 v5, v10, v5, vcc
	v_mul_f32_e32 v5, v4, v5
.LBB29_71:
	s_or_b64 exec, exec, s[4:5]
	v_cvt_f64_f32_e32 v[4:5], v5
	v_cmp_eq_u32_e64 s[4:5], 0, v16
	s_and_b64 vcc, exec, s[6:7]
	s_mov_b64 s[2:3], -1
	s_cbranch_vccnz .LBB29_75
; %bb.72:
	s_cmp_eq_u64 s[24:25], 8
	v_cvt_f64_f32_e32 v[10:11], v17
	s_cselect_b64 vcc, -1, 0
	v_cndmask_b32_e32 v3, v11, v3, vcc
	v_cndmask_b32_e32 v2, v10, v2, vcc
	v_cmp_ge_f64_e32 vcc, v[2:3], v[4:5]
	s_and_b64 s[6:7], s[4:5], vcc
	s_and_saveexec_b64 s[2:3], s[6:7]
	s_cbranch_execz .LBB29_74
; %bb.73:
	v_mov_b32_e32 v2, s33
	v_mov_b32_e32 v3, s35
	global_store_dwordx2 v[8:9], v[2:3], off
	buffer_wbl2 sc1
	s_waitcnt vmcnt(0)
	buffer_inv sc1
.LBB29_74:
	s_or_b64 exec, exec, s[2:3]
	s_mov_b64 s[2:3], 0
.LBB29_75:
	s_andn2_b64 vcc, exec, s[2:3]
	s_cbranch_vccnz .LBB29_86
; %bb.76:
	s_load_dwordx2 s[0:1], s[0:1], 0x48
	v_add_u32_e32 v2, s34, v0
	s_waitcnt lgkmcnt(0)
	v_cmp_ge_f64_e32 vcc, s[0:1], v[4:5]
	s_and_b64 s[2:3], s[4:5], vcc
	s_and_saveexec_b64 s[0:1], s[2:3]
	s_cbranch_execz .LBB29_81
; %bb.77:
	s_mov_b64 s[2:3], exec
	s_brev_b32 s6, -2
.LBB29_78:                              ; =>This Inner Loop Header: Depth=1
	s_ff1_i32_b64 s7, s[2:3]
	v_readlane_b32 s12, v2, s7
	s_lshl_b64 s[10:11], 1, s7
	s_min_i32 s6, s6, s12
	s_andn2_b64 s[2:3], s[2:3], s[10:11]
	s_cmp_lg_u64 s[2:3], 0
	s_cbranch_scc1 .LBB29_78
; %bb.79:
	v_mbcnt_lo_u32_b32 v3, exec_lo, 0
	v_mbcnt_hi_u32_b32 v3, exec_hi, v3
	v_cmp_eq_u32_e32 vcc, 0, v3
	s_and_saveexec_b64 s[2:3], vcc
	s_xor_b64 s[2:3], exec, s[2:3]
	s_cbranch_execz .LBB29_81
; %bb.80:
	v_mov_b32_e32 v3, 0
	v_mov_b32_e32 v4, s6
	global_atomic_smin v3, v4, s[22:23]
.LBB29_81:
	s_or_b64 exec, exec, s[0:1]
	v_cmp_eq_f32_e32 vcc, 0, v6
	v_cmp_eq_f32_e64 s[0:1], 0, v7
	s_and_b64 s[0:1], vcc, s[0:1]
	s_and_b64 s[0:1], s[4:5], s[0:1]
	s_and_b64 exec, exec, s[0:1]
	s_cbranch_execz .LBB29_86
; %bb.82:
	s_mov_b64 s[0:1], exec
	s_brev_b32 s2, -2
.LBB29_83:                              ; =>This Inner Loop Header: Depth=1
	s_ff1_i32_b64 s3, s[0:1]
	v_readlane_b32 s6, v2, s3
	s_lshl_b64 s[4:5], 1, s3
	s_min_i32 s2, s2, s6
	s_andn2_b64 s[0:1], s[0:1], s[4:5]
	s_cmp_lg_u64 s[0:1], 0
	s_cbranch_scc1 .LBB29_83
; %bb.84:
	v_mbcnt_lo_u32_b32 v2, exec_lo, 0
	v_mbcnt_hi_u32_b32 v2, exec_hi, v2
	v_cmp_eq_u32_e32 vcc, 0, v2
	s_and_saveexec_b64 s[0:1], vcc
	s_xor_b64 s[0:1], exec, s[0:1]
	s_cbranch_execz .LBB29_86
; %bb.85:
	v_mov_b32_e32 v2, 0
	v_mov_b32_e32 v3, s2
	global_atomic_smin v2, v3, s[20:21]
.LBB29_86:
	s_or_b64 exec, exec, s[8:9]
	v_cmp_eq_u32_e32 vcc, 0, v16
	buffer_wbl2 sc1
	s_waitcnt vmcnt(0)
	buffer_inv sc1
	s_and_b64 exec, exec, vcc
	s_cbranch_execz .LBB29_88
; %bb.87:
	v_lshl_add_u64 v[0:1], v[0:1], 2, s[16:17]
	v_mov_b32_e32 v2, 1
	buffer_wbl2 sc1
	global_store_dword v[0:1], v2, off sc1
.LBB29_88:
	s_endpgm
	.section	.rodata,"a",@progbits
	.p2align	6, 0x0
	.amdhsa_kernel _ZN9rocsparseL12csrilu0_hashILj256ELj32ELj4E21rocsparse_complex_numIfEEEviPKiS4_PT2_S4_PiS4_S7_S7_d21rocsparse_index_base_imNS_24const_host_device_scalarIfEENS9_IdEENS9_IS5_EEb
		.amdhsa_group_segment_fixed_size 8192
		.amdhsa_private_segment_fixed_size 0
		.amdhsa_kernarg_size 124
		.amdhsa_user_sgpr_count 2
		.amdhsa_user_sgpr_dispatch_ptr 0
		.amdhsa_user_sgpr_queue_ptr 0
		.amdhsa_user_sgpr_kernarg_segment_ptr 1
		.amdhsa_user_sgpr_dispatch_id 0
		.amdhsa_user_sgpr_kernarg_preload_length 0
		.amdhsa_user_sgpr_kernarg_preload_offset 0
		.amdhsa_user_sgpr_private_segment_size 0
		.amdhsa_uses_dynamic_stack 0
		.amdhsa_enable_private_segment 0
		.amdhsa_system_sgpr_workgroup_id_x 1
		.amdhsa_system_sgpr_workgroup_id_y 0
		.amdhsa_system_sgpr_workgroup_id_z 0
		.amdhsa_system_sgpr_workgroup_info 0
		.amdhsa_system_vgpr_workitem_id 0
		.amdhsa_next_free_vgpr 26
		.amdhsa_next_free_sgpr 63
		.amdhsa_accum_offset 28
		.amdhsa_reserve_vcc 1
		.amdhsa_float_round_mode_32 0
		.amdhsa_float_round_mode_16_64 0
		.amdhsa_float_denorm_mode_32 3
		.amdhsa_float_denorm_mode_16_64 3
		.amdhsa_dx10_clamp 1
		.amdhsa_ieee_mode 1
		.amdhsa_fp16_overflow 0
		.amdhsa_tg_split 0
		.amdhsa_exception_fp_ieee_invalid_op 0
		.amdhsa_exception_fp_denorm_src 0
		.amdhsa_exception_fp_ieee_div_zero 0
		.amdhsa_exception_fp_ieee_overflow 0
		.amdhsa_exception_fp_ieee_underflow 0
		.amdhsa_exception_fp_ieee_inexact 0
		.amdhsa_exception_int_div_zero 0
	.end_amdhsa_kernel
	.section	.text._ZN9rocsparseL12csrilu0_hashILj256ELj32ELj4E21rocsparse_complex_numIfEEEviPKiS4_PT2_S4_PiS4_S7_S7_d21rocsparse_index_base_imNS_24const_host_device_scalarIfEENS9_IdEENS9_IS5_EEb,"axG",@progbits,_ZN9rocsparseL12csrilu0_hashILj256ELj32ELj4E21rocsparse_complex_numIfEEEviPKiS4_PT2_S4_PiS4_S7_S7_d21rocsparse_index_base_imNS_24const_host_device_scalarIfEENS9_IdEENS9_IS5_EEb,comdat
.Lfunc_end29:
	.size	_ZN9rocsparseL12csrilu0_hashILj256ELj32ELj4E21rocsparse_complex_numIfEEEviPKiS4_PT2_S4_PiS4_S7_S7_d21rocsparse_index_base_imNS_24const_host_device_scalarIfEENS9_IdEENS9_IS5_EEb, .Lfunc_end29-_ZN9rocsparseL12csrilu0_hashILj256ELj32ELj4E21rocsparse_complex_numIfEEEviPKiS4_PT2_S4_PiS4_S7_S7_d21rocsparse_index_base_imNS_24const_host_device_scalarIfEENS9_IdEENS9_IS5_EEb
                                        ; -- End function
	.set _ZN9rocsparseL12csrilu0_hashILj256ELj32ELj4E21rocsparse_complex_numIfEEEviPKiS4_PT2_S4_PiS4_S7_S7_d21rocsparse_index_base_imNS_24const_host_device_scalarIfEENS9_IdEENS9_IS5_EEb.num_vgpr, 26
	.set _ZN9rocsparseL12csrilu0_hashILj256ELj32ELj4E21rocsparse_complex_numIfEEEviPKiS4_PT2_S4_PiS4_S7_S7_d21rocsparse_index_base_imNS_24const_host_device_scalarIfEENS9_IdEENS9_IS5_EEb.num_agpr, 0
	.set _ZN9rocsparseL12csrilu0_hashILj256ELj32ELj4E21rocsparse_complex_numIfEEEviPKiS4_PT2_S4_PiS4_S7_S7_d21rocsparse_index_base_imNS_24const_host_device_scalarIfEENS9_IdEENS9_IS5_EEb.numbered_sgpr, 63
	.set _ZN9rocsparseL12csrilu0_hashILj256ELj32ELj4E21rocsparse_complex_numIfEEEviPKiS4_PT2_S4_PiS4_S7_S7_d21rocsparse_index_base_imNS_24const_host_device_scalarIfEENS9_IdEENS9_IS5_EEb.num_named_barrier, 0
	.set _ZN9rocsparseL12csrilu0_hashILj256ELj32ELj4E21rocsparse_complex_numIfEEEviPKiS4_PT2_S4_PiS4_S7_S7_d21rocsparse_index_base_imNS_24const_host_device_scalarIfEENS9_IdEENS9_IS5_EEb.private_seg_size, 0
	.set _ZN9rocsparseL12csrilu0_hashILj256ELj32ELj4E21rocsparse_complex_numIfEEEviPKiS4_PT2_S4_PiS4_S7_S7_d21rocsparse_index_base_imNS_24const_host_device_scalarIfEENS9_IdEENS9_IS5_EEb.uses_vcc, 1
	.set _ZN9rocsparseL12csrilu0_hashILj256ELj32ELj4E21rocsparse_complex_numIfEEEviPKiS4_PT2_S4_PiS4_S7_S7_d21rocsparse_index_base_imNS_24const_host_device_scalarIfEENS9_IdEENS9_IS5_EEb.uses_flat_scratch, 0
	.set _ZN9rocsparseL12csrilu0_hashILj256ELj32ELj4E21rocsparse_complex_numIfEEEviPKiS4_PT2_S4_PiS4_S7_S7_d21rocsparse_index_base_imNS_24const_host_device_scalarIfEENS9_IdEENS9_IS5_EEb.has_dyn_sized_stack, 0
	.set _ZN9rocsparseL12csrilu0_hashILj256ELj32ELj4E21rocsparse_complex_numIfEEEviPKiS4_PT2_S4_PiS4_S7_S7_d21rocsparse_index_base_imNS_24const_host_device_scalarIfEENS9_IdEENS9_IS5_EEb.has_recursion, 0
	.set _ZN9rocsparseL12csrilu0_hashILj256ELj32ELj4E21rocsparse_complex_numIfEEEviPKiS4_PT2_S4_PiS4_S7_S7_d21rocsparse_index_base_imNS_24const_host_device_scalarIfEENS9_IdEENS9_IS5_EEb.has_indirect_call, 0
	.section	.AMDGPU.csdata,"",@progbits
; Kernel info:
; codeLenInByte = 3108
; TotalNumSgprs: 69
; NumVgprs: 26
; NumAgprs: 0
; TotalNumVgprs: 26
; ScratchSize: 0
; MemoryBound: 0
; FloatMode: 240
; IeeeMode: 1
; LDSByteSize: 8192 bytes/workgroup (compile time only)
; SGPRBlocks: 8
; VGPRBlocks: 3
; NumSGPRsForWavesPerEU: 69
; NumVGPRsForWavesPerEU: 26
; AccumOffset: 28
; Occupancy: 8
; WaveLimiterHint : 1
; COMPUTE_PGM_RSRC2:SCRATCH_EN: 0
; COMPUTE_PGM_RSRC2:USER_SGPR: 2
; COMPUTE_PGM_RSRC2:TRAP_HANDLER: 0
; COMPUTE_PGM_RSRC2:TGID_X_EN: 1
; COMPUTE_PGM_RSRC2:TGID_Y_EN: 0
; COMPUTE_PGM_RSRC2:TGID_Z_EN: 0
; COMPUTE_PGM_RSRC2:TIDIG_COMP_CNT: 0
; COMPUTE_PGM_RSRC3_GFX90A:ACCUM_OFFSET: 6
; COMPUTE_PGM_RSRC3_GFX90A:TG_SPLIT: 0
	.section	.text._ZN9rocsparseL12csrilu0_hashILj256ELj32ELj8E21rocsparse_complex_numIfEEEviPKiS4_PT2_S4_PiS4_S7_S7_d21rocsparse_index_base_imNS_24const_host_device_scalarIfEENS9_IdEENS9_IS5_EEb,"axG",@progbits,_ZN9rocsparseL12csrilu0_hashILj256ELj32ELj8E21rocsparse_complex_numIfEEEviPKiS4_PT2_S4_PiS4_S7_S7_d21rocsparse_index_base_imNS_24const_host_device_scalarIfEENS9_IdEENS9_IS5_EEb,comdat
	.globl	_ZN9rocsparseL12csrilu0_hashILj256ELj32ELj8E21rocsparse_complex_numIfEEEviPKiS4_PT2_S4_PiS4_S7_S7_d21rocsparse_index_base_imNS_24const_host_device_scalarIfEENS9_IdEENS9_IS5_EEb ; -- Begin function _ZN9rocsparseL12csrilu0_hashILj256ELj32ELj8E21rocsparse_complex_numIfEEEviPKiS4_PT2_S4_PiS4_S7_S7_d21rocsparse_index_base_imNS_24const_host_device_scalarIfEENS9_IdEENS9_IS5_EEb
	.p2align	8
	.type	_ZN9rocsparseL12csrilu0_hashILj256ELj32ELj8E21rocsparse_complex_numIfEEEviPKiS4_PT2_S4_PiS4_S7_S7_d21rocsparse_index_base_imNS_24const_host_device_scalarIfEENS9_IdEENS9_IS5_EEb,@function
_ZN9rocsparseL12csrilu0_hashILj256ELj32ELj8E21rocsparse_complex_numIfEEEviPKiS4_PT2_S4_PiS4_S7_S7_d21rocsparse_index_base_imNS_24const_host_device_scalarIfEENS9_IdEENS9_IS5_EEb: ; @_ZN9rocsparseL12csrilu0_hashILj256ELj32ELj8E21rocsparse_complex_numIfEEEviPKiS4_PT2_S4_PiS4_S7_S7_d21rocsparse_index_base_imNS_24const_host_device_scalarIfEENS9_IdEENS9_IS5_EEb
; %bb.0:
	s_load_dword s3, s[0:1], 0x78
	s_load_dwordx2 s[34:35], s[0:1], 0x50
	s_load_dwordx8 s[24:31], s[0:1], 0x58
	s_waitcnt lgkmcnt(0)
	s_bitcmp1_b32 s3, 0
	s_cselect_b64 s[4:5], -1, 0
	s_cmp_eq_u32 s35, 0
	s_cselect_b64 s[12:13], -1, 0
	s_cmp_lg_u32 s35, 0
	s_cselect_b64 s[8:9], -1, 0
	s_or_b64 s[14:15], s[12:13], s[4:5]
	s_xor_b64 s[6:7], s[14:15], -1
	s_and_b64 s[10:11], s[12:13], exec
	s_cselect_b32 s11, 0, s29
	s_cselect_b32 s10, 0, s28
	s_and_b64 vcc, exec, s[14:15]
	s_cbranch_vccnz .LBB30_2
; %bb.1:
	s_load_dword s3, s[26:27], 0x0
	s_mov_b64 s[10:11], s[28:29]
	s_waitcnt lgkmcnt(0)
	v_mov_b32_e32 v17, s3
	s_andn2_b64 vcc, exec, s[6:7]
	v_mov_b64_e32 v[2:3], s[10:11]
	s_cbranch_vccz .LBB30_3
	s_branch .LBB30_4
.LBB30_2:
	v_mov_b32_e32 v1, s26
	v_cndmask_b32_e64 v17, v1, 0, s[12:13]
	s_andn2_b64 vcc, exec, s[6:7]
	v_mov_b64_e32 v[2:3], s[10:11]
	s_cbranch_vccnz .LBB30_4
.LBB30_3:
	v_mov_b64_e32 v[2:3], s[28:29]
	flat_load_dwordx2 v[2:3], v[2:3]
.LBB30_4:
	v_cndmask_b32_e64 v1, 0, 1, s[8:9]
	s_mov_b32 s33, 0
	v_cmp_ne_u32_e64 s[6:7], 1, v1
	s_andn2_b64 vcc, exec, s[8:9]
	s_mov_b32 s35, 0
	s_cbranch_vccnz .LBB30_10
; %bb.5:
	s_xor_b64 s[8:9], s[4:5], -1
	v_cndmask_b32_e64 v1, 0, 1, s[8:9]
	v_cmp_ne_u32_e64 s[4:5], 1, v1
	s_andn2_b64 vcc, exec, s[8:9]
	s_mov_b32 s33, s30
	s_cbranch_vccnz .LBB30_7
; %bb.6:
	s_load_dword s33, s[30:31], 0x0
.LBB30_7:
	s_and_b64 vcc, exec, s[4:5]
	s_cbranch_vccnz .LBB30_9
; %bb.8:
	s_load_dword s31, s[30:31], 0x4
.LBB30_9:
	s_waitcnt lgkmcnt(0)
	s_mov_b32 s35, s31
.LBB30_10:
	s_load_dword s3, s[0:1], 0x0
	v_lshlrev_b32_e32 v1, 3, v0
	s_lshl_b32 s2, s2, 3
	v_and_b32_e32 v16, 31, v0
	v_and_b32_e32 v6, 0x700, v1
	v_mov_b32_e32 v1, 0x2000
	v_lshrrev_b32_e32 v0, 5, v0
	s_and_b32 s2, s2, 0x7fffff8
	v_lshl_or_b32 v5, v6, 2, v1
	v_or_b32_e32 v0, s2, v0
	v_lshl_or_b32 v1, v16, 2, v5
	v_mov_b32_e32 v4, -1
	s_waitcnt lgkmcnt(0)
	v_cmp_gt_i32_e32 vcc, s3, v0
	ds_write2_b32 v1, v4, v4 offset1:32
	ds_write2_b32 v1, v4, v4 offset0:64 offset1:96
	ds_write2_b32 v1, v4, v4 offset0:128 offset1:160
	;; [unrolled: 1-line block ×3, first 2 shown]
	s_waitcnt lgkmcnt(0)
	s_and_saveexec_b64 s[2:3], vcc
	s_cbranch_execz .LBB30_88
; %bb.11:
	s_load_dwordx16 s[8:23], s[0:1], 0x8
	v_lshlrev_b32_e32 v0, 2, v0
	v_lshlrev_b32_e32 v18, 2, v6
	s_waitcnt lgkmcnt(0)
	global_load_dword v0, v0, s[18:19]
	s_waitcnt vmcnt(0)
	v_ashrrev_i32_e32 v1, 31, v0
	v_lshlrev_b64 v[8:9], 2, v[0:1]
	v_lshl_add_u64 v[10:11], s[8:9], 0, v[8:9]
	global_load_dwordx2 v[10:11], v[10:11], off
	v_lshl_add_u64 v[8:9], s[14:15], 0, v[8:9]
	global_load_dword v4, v[8:9], off
	s_waitcnt vmcnt(1)
	v_subrev_u32_e32 v6, s34, v10
	v_subrev_u32_e32 v7, s34, v11
	v_add_u32_e32 v8, v6, v16
	v_cmp_lt_i32_e32 vcc, v8, v7
	s_and_saveexec_b64 s[2:3], vcc
	s_cbranch_execz .LBB30_34
; %bb.12:
	s_mov_b64 s[4:5], 0
	s_movk_i32 s56, 0x67
	v_mov_b32_e32 v10, -1
	s_branch .LBB30_14
.LBB30_13:                              ;   in Loop: Header=BB30_14 Depth=1
	s_or_b64 exec, exec, s[18:19]
	v_add_u32_e32 v8, 32, v8
	v_cmp_ge_i32_e32 vcc, v8, v7
	s_or_b64 s[4:5], vcc, s[4:5]
	s_andn2_b64 exec, exec, s[4:5]
	s_cbranch_execz .LBB30_34
.LBB30_14:                              ; =>This Loop Header: Depth=1
                                        ;     Child Loop BB30_23 Depth 2
	v_ashrrev_i32_e32 v9, 31, v8
	v_lshl_add_u64 v[12:13], v[8:9], 2, s[10:11]
	global_load_dword v9, v[12:13], off
	v_mov_b32_e32 v11, 0x100
	s_mov_b64 s[26:27], 0
                                        ; implicit-def: $sgpr18_sgpr19
                                        ; implicit-def: $sgpr28_sgpr29
                                        ; implicit-def: $sgpr30_sgpr31
	s_waitcnt vmcnt(0)
	v_mul_lo_u32 v13, v9, s56
	s_branch .LBB30_23
.LBB30_15:                              ;   in Loop: Header=BB30_23 Depth=2
	s_or_b64 exec, exec, s[54:55]
	s_orn2_b64 s[50:51], s[50:51], exec
	s_orn2_b64 s[52:53], s[52:53], exec
.LBB30_16:                              ;   in Loop: Header=BB30_23 Depth=2
	s_or_b64 exec, exec, s[48:49]
	s_and_b64 s[50:51], s[50:51], exec
	s_orn2_b64 s[48:49], s[52:53], exec
.LBB30_17:                              ;   in Loop: Header=BB30_23 Depth=2
	s_or_b64 exec, exec, s[46:47]
	s_orn2_b64 s[50:51], s[50:51], exec
	s_orn2_b64 s[46:47], s[48:49], exec
.LBB30_18:                              ;   in Loop: Header=BB30_23 Depth=2
	s_or_b64 exec, exec, s[44:45]
	s_and_b64 s[48:49], s[50:51], exec
	s_orn2_b64 s[44:45], s[46:47], exec
.LBB30_19:                              ;   in Loop: Header=BB30_23 Depth=2
	s_or_b64 exec, exec, s[42:43]
	s_orn2_b64 s[42:43], s[48:49], exec
	s_orn2_b64 s[44:45], s[44:45], exec
.LBB30_20:                              ;   in Loop: Header=BB30_23 Depth=2
	s_or_b64 exec, exec, s[40:41]
	s_and_b64 s[42:43], s[42:43], exec
	s_orn2_b64 s[40:41], s[44:45], exec
.LBB30_21:                              ;   in Loop: Header=BB30_23 Depth=2
	s_or_b64 exec, exec, s[38:39]
	s_andn2_b64 s[30:31], s[30:31], exec
	s_and_b64 s[38:39], s[42:43], exec
	s_or_b64 s[30:31], s[30:31], s[38:39]
	s_andn2_b64 s[28:29], s[28:29], exec
	s_and_b64 s[38:39], s[40:41], exec
	s_or_b64 s[28:29], s[28:29], s[38:39]
.LBB30_22:                              ;   in Loop: Header=BB30_23 Depth=2
	s_or_b64 exec, exec, s[36:37]
	s_and_b64 s[36:37], exec, s[28:29]
	s_or_b64 s[26:27], s[36:37], s[26:27]
	s_andn2_b64 s[18:19], s[18:19], exec
	s_and_b64 s[36:37], s[30:31], exec
	s_or_b64 s[18:19], s[18:19], s[36:37]
	s_andn2_b64 exec, exec, s[26:27]
	s_cbranch_execz .LBB30_32
.LBB30_23:                              ;   Parent Loop BB30_14 Depth=1
                                        ; =>  This Inner Loop Header: Depth=2
	v_and_b32_e32 v12, 0xff, v13
	v_lshl_add_u32 v14, v12, 2, v5
	ds_read_b32 v15, v14
	s_or_b64 s[30:31], s[30:31], exec
	s_or_b64 s[28:29], s[28:29], exec
	s_waitcnt lgkmcnt(0)
	v_cmp_ne_u32_e32 vcc, v15, v9
	s_and_saveexec_b64 s[36:37], vcc
	s_cbranch_execz .LBB30_22
; %bb.24:                               ;   in Loop: Header=BB30_23 Depth=2
	ds_cmpst_rtn_b32 v14, v14, v10, v9
	s_mov_b64 s[40:41], -1
	s_mov_b64 s[42:43], 0
	s_waitcnt lgkmcnt(0)
	v_cmp_ne_u32_e32 vcc, -1, v14
	s_and_saveexec_b64 s[38:39], vcc
	s_cbranch_execz .LBB30_21
; %bb.25:                               ;   in Loop: Header=BB30_23 Depth=2
	v_add_u32_e32 v12, 1, v13
	v_and_b32_e32 v12, 0xff, v12
	v_lshl_add_u32 v14, v12, 2, v5
	ds_read_b32 v15, v14
	s_mov_b64 s[44:45], -1
	s_mov_b64 s[42:43], -1
	s_waitcnt lgkmcnt(0)
	v_cmp_ne_u32_e32 vcc, v15, v9
	s_and_saveexec_b64 s[40:41], vcc
	s_cbranch_execz .LBB30_20
; %bb.26:                               ;   in Loop: Header=BB30_23 Depth=2
	ds_cmpst_rtn_b32 v14, v14, v10, v9
	s_mov_b64 s[48:49], 0
	s_waitcnt lgkmcnt(0)
	v_cmp_ne_u32_e32 vcc, -1, v14
	s_and_saveexec_b64 s[42:43], vcc
	s_cbranch_execz .LBB30_19
; %bb.27:                               ;   in Loop: Header=BB30_23 Depth=2
	v_add_u32_e32 v12, 2, v13
	v_and_b32_e32 v12, 0xff, v12
	v_lshl_add_u32 v14, v12, 2, v5
	ds_read_b32 v15, v14
	s_mov_b64 s[46:47], -1
	s_mov_b64 s[50:51], -1
	s_waitcnt lgkmcnt(0)
	v_cmp_ne_u32_e32 vcc, v15, v9
	s_and_saveexec_b64 s[44:45], vcc
	s_cbranch_execz .LBB30_18
; %bb.28:                               ;   in Loop: Header=BB30_23 Depth=2
	ds_cmpst_rtn_b32 v14, v14, v10, v9
	s_mov_b64 s[48:49], -1
	s_mov_b64 s[50:51], 0
	s_waitcnt lgkmcnt(0)
	v_cmp_ne_u32_e32 vcc, -1, v14
	s_and_saveexec_b64 s[46:47], vcc
	s_cbranch_execz .LBB30_17
; %bb.29:                               ;   in Loop: Header=BB30_23 Depth=2
	v_add_u32_e32 v12, 3, v13
	v_and_b32_e32 v12, 0xff, v12
	v_lshl_add_u32 v14, v12, 2, v5
	ds_read_b32 v13, v14
	s_mov_b64 s[52:53], -1
	s_mov_b64 s[50:51], -1
	s_waitcnt lgkmcnt(0)
	v_cmp_ne_u32_e32 vcc, v13, v9
                                        ; implicit-def: $vgpr13
	s_and_saveexec_b64 s[48:49], vcc
	s_cbranch_execz .LBB30_16
; %bb.30:                               ;   in Loop: Header=BB30_23 Depth=2
	ds_cmpst_rtn_b32 v13, v14, v10, v9
	s_mov_b64 s[50:51], 0
	s_waitcnt lgkmcnt(0)
	v_cmp_ne_u32_e32 vcc, -1, v13
                                        ; implicit-def: $vgpr13
	s_and_saveexec_b64 s[54:55], vcc
	s_cbranch_execz .LBB30_15
; %bb.31:                               ;   in Loop: Header=BB30_23 Depth=2
	v_add_u32_e32 v11, -4, v11
	v_cmp_eq_u32_e32 vcc, 0, v11
	s_mov_b64 s[50:51], exec
	v_add_u32_e32 v13, 1, v12
	s_orn2_b64 s[52:53], vcc, exec
	s_branch .LBB30_15
.LBB30_32:                              ;   in Loop: Header=BB30_14 Depth=1
	s_or_b64 exec, exec, s[26:27]
	s_xor_b64 s[18:19], s[18:19], -1
	s_and_saveexec_b64 s[26:27], s[18:19]
	s_xor_b64 s[18:19], exec, s[26:27]
	s_cbranch_execz .LBB30_13
; %bb.33:                               ;   in Loop: Header=BB30_14 Depth=1
	v_lshl_add_u32 v9, v12, 2, v18
	ds_write_b32 v9, v8
	s_branch .LBB30_13
.LBB30_34:
	s_or_b64 exec, exec, s[2:3]
	s_waitcnt vmcnt(0)
	v_cmp_lt_i32_e32 vcc, v6, v4
	s_waitcnt lgkmcnt(0)
	s_and_saveexec_b64 s[4:5], vcc
	s_cbranch_execz .LBB30_64
; %bb.35:
	v_add_u32_e32 v19, 1, v16
	s_mov_b64 s[18:19], 0
	s_movk_i32 s62, 0x67
	s_branch .LBB30_38
.LBB30_36:                              ;   in Loop: Header=BB30_38 Depth=1
	s_or_b64 exec, exec, s[26:27]
	v_add_u32_e32 v6, 1, v6
	v_cmp_ge_i32_e32 vcc, v6, v4
	s_orn2_b64 s[26:27], vcc, exec
.LBB30_37:                              ;   in Loop: Header=BB30_38 Depth=1
	s_or_b64 exec, exec, s[2:3]
	s_and_b64 s[2:3], exec, s[26:27]
	s_or_b64 s[18:19], s[2:3], s[18:19]
	s_andn2_b64 exec, exec, s[18:19]
	s_cbranch_execz .LBB30_64
.LBB30_38:                              ; =>This Loop Header: Depth=1
                                        ;     Child Loop BB30_39 Depth 2
                                        ;     Child Loop BB30_44 Depth 2
                                        ;       Child Loop BB30_53 Depth 3
	v_ashrrev_i32_e32 v7, 31, v6
	v_lshl_add_u64 v[8:9], v[6:7], 2, s[10:11]
	global_load_dword v12, v[8:9], off
	v_lshl_add_u64 v[10:11], v[6:7], 3, s[12:13]
	global_load_dwordx2 v[8:9], v[10:11], off
	s_mov_b64 s[2:3], 0
	s_waitcnt vmcnt(1)
	v_subrev_u32_e32 v12, s34, v12
	v_ashrrev_i32_e32 v13, 31, v12
	v_lshlrev_b64 v[12:13], 2, v[12:13]
	v_lshl_add_u64 v[20:21], s[8:9], 0, v[12:13]
	v_lshl_add_u64 v[22:23], s[14:15], 0, v[12:13]
	global_load_dword v7, v[20:21], off offset:4
	global_load_dword v14, v[22:23], off
	v_lshl_add_u64 v[12:13], s[16:17], 0, v[12:13]
.LBB30_39:                              ;   Parent Loop BB30_38 Depth=1
                                        ; =>  This Inner Loop Header: Depth=2
	global_load_dword v15, v[12:13], off sc1
	s_waitcnt vmcnt(0)
	v_cmp_ne_u32_e32 vcc, 0, v15
	s_or_b64 s[2:3], vcc, s[2:3]
	s_andn2_b64 exec, exec, s[2:3]
	s_cbranch_execnz .LBB30_39
; %bb.40:                               ;   in Loop: Header=BB30_38 Depth=1
	s_or_b64 exec, exec, s[2:3]
	v_subrev_u32_e32 v7, s34, v7
	v_add_u32_e32 v12, -1, v7
	v_cmp_eq_u32_e32 vcc, -1, v14
	buffer_inv sc1
	s_mov_b64 s[26:27], -1
	v_cndmask_b32_e32 v12, v14, v12, vcc
	v_ashrrev_i32_e32 v13, 31, v12
	v_lshl_add_u64 v[14:15], v[12:13], 3, s[12:13]
	global_load_dwordx2 v[14:15], v[14:15], off
	s_waitcnt vmcnt(0)
	v_cmp_neq_f32_e32 vcc, 0, v14
	v_cmp_neq_f32_e64 s[2:3], 0, v15
	s_or_b64 s[28:29], vcc, s[2:3]
	s_and_saveexec_b64 s[2:3], s[28:29]
	s_cbranch_execz .LBB30_37
; %bb.41:                               ;   in Loop: Header=BB30_38 Depth=1
	v_mul_f32_e32 v13, v15, v15
	v_fmac_f32_e32 v13, v14, v14
	v_div_scale_f32 v20, s[26:27], v13, v13, 1.0
	v_rcp_f32_e32 v21, v20
	v_div_scale_f32 v22, vcc, 1.0, v13, 1.0
	v_fma_f32 v23, -v20, v21, 1.0
	v_fmac_f32_e32 v21, v23, v21
	v_mul_f32_e32 v23, v22, v21
	v_fma_f32 v24, -v20, v23, v22
	v_fmac_f32_e32 v23, v24, v21
	v_fma_f32 v20, -v20, v23, v22
	v_div_fmas_f32 v20, v20, v21, v23
	v_xor_b32_e32 v23, 0x80000000, v8
	v_mov_b32_e32 v22, v9
	v_mov_b32_e32 v24, v15
	v_pk_mul_f32 v[22:23], v[22:23], v[24:25] op_sel_hi:[1,0]
	v_div_fixup_f32 v20, v20, v13, 1.0
	v_pk_fma_f32 v[8:9], v[8:9], v[14:15], v[22:23] op_sel_hi:[1,0,1]
	s_nop 0
	v_pk_mul_f32 v[8:9], v[8:9], v[20:21] op_sel_hi:[1,0]
	global_store_dwordx2 v[10:11], v[8:9], off
	v_add_u32_e32 v10, v19, v12
	v_cmp_lt_i32_e32 vcc, v10, v7
	s_and_saveexec_b64 s[26:27], vcc
	s_cbranch_execz .LBB30_36
; %bb.42:                               ;   in Loop: Header=BB30_38 Depth=1
	v_pk_add_f32 v[12:13], v[8:9], 0 neg_lo:[1,1] neg_hi:[1,1]
	s_mov_b64 s[28:29], 0
	v_pk_mov_b32 v[12:13], v[8:9], v[12:13] op_sel:[1,0]
	s_branch .LBB30_44
.LBB30_43:                              ;   in Loop: Header=BB30_44 Depth=2
	s_or_b64 exec, exec, s[30:31]
	v_add_u32_e32 v10, 32, v10
	v_cmp_ge_i32_e32 vcc, v10, v7
	s_or_b64 s[28:29], vcc, s[28:29]
	s_andn2_b64 exec, exec, s[28:29]
	s_cbranch_execz .LBB30_36
.LBB30_44:                              ;   Parent Loop BB30_38 Depth=1
                                        ; =>  This Loop Header: Depth=2
                                        ;       Child Loop BB30_53 Depth 3
	v_ashrrev_i32_e32 v11, 31, v10
	v_lshl_add_u64 v[14:15], v[10:11], 2, s[10:11]
	global_load_dword v14, v[14:15], off
	v_mov_b32_e32 v15, 0x100
	s_mov_b64 s[36:37], 0
                                        ; implicit-def: $sgpr30_sgpr31
                                        ; implicit-def: $sgpr38_sgpr39
                                        ; implicit-def: $sgpr40_sgpr41
	s_waitcnt vmcnt(0)
	v_mul_lo_u32 v21, v14, s62
	s_branch .LBB30_53
.LBB30_45:                              ;   in Loop: Header=BB30_53 Depth=3
	s_or_b64 exec, exec, s[60:61]
	s_orn2_b64 s[56:57], s[56:57], exec
	s_orn2_b64 s[58:59], s[58:59], exec
.LBB30_46:                              ;   in Loop: Header=BB30_53 Depth=3
	s_or_b64 exec, exec, s[54:55]
	s_and_b64 s[56:57], s[56:57], exec
	s_orn2_b64 s[54:55], s[58:59], exec
.LBB30_47:                              ;   in Loop: Header=BB30_53 Depth=3
	s_or_b64 exec, exec, s[52:53]
	s_orn2_b64 s[56:57], s[56:57], exec
	s_orn2_b64 s[52:53], s[54:55], exec
.LBB30_48:                              ;   in Loop: Header=BB30_53 Depth=3
	s_or_b64 exec, exec, s[50:51]
	s_and_b64 s[54:55], s[56:57], exec
	s_orn2_b64 s[50:51], s[52:53], exec
.LBB30_49:                              ;   in Loop: Header=BB30_53 Depth=3
	s_or_b64 exec, exec, s[48:49]
	s_orn2_b64 s[48:49], s[54:55], exec
	s_orn2_b64 s[50:51], s[50:51], exec
.LBB30_50:                              ;   in Loop: Header=BB30_53 Depth=3
	s_or_b64 exec, exec, s[46:47]
	s_and_b64 s[48:49], s[48:49], exec
	s_orn2_b64 s[46:47], s[50:51], exec
.LBB30_51:                              ;   in Loop: Header=BB30_53 Depth=3
	s_or_b64 exec, exec, s[44:45]
	s_andn2_b64 s[40:41], s[40:41], exec
	s_and_b64 s[44:45], s[48:49], exec
	s_or_b64 s[40:41], s[40:41], s[44:45]
	s_andn2_b64 s[38:39], s[38:39], exec
	s_and_b64 s[44:45], s[46:47], exec
	s_or_b64 s[38:39], s[38:39], s[44:45]
.LBB30_52:                              ;   in Loop: Header=BB30_53 Depth=3
	s_or_b64 exec, exec, s[42:43]
	s_and_b64 s[42:43], exec, s[38:39]
	s_or_b64 s[36:37], s[42:43], s[36:37]
	s_andn2_b64 s[30:31], s[30:31], exec
	s_and_b64 s[42:43], s[40:41], exec
	s_or_b64 s[30:31], s[30:31], s[42:43]
	s_andn2_b64 exec, exec, s[36:37]
	s_cbranch_execz .LBB30_62
.LBB30_53:                              ;   Parent Loop BB30_38 Depth=1
                                        ;     Parent Loop BB30_44 Depth=2
                                        ; =>    This Inner Loop Header: Depth=3
	v_and_b32_e32 v20, 0xff, v21
	v_lshl_add_u32 v22, v20, 2, v5
	ds_read_b32 v22, v22
	s_or_b64 s[40:41], s[40:41], exec
	s_or_b64 s[38:39], s[38:39], exec
	s_waitcnt lgkmcnt(0)
	v_cmp_ne_u32_e32 vcc, -1, v22
	s_and_saveexec_b64 s[42:43], vcc
	s_cbranch_execz .LBB30_52
; %bb.54:                               ;   in Loop: Header=BB30_53 Depth=3
	v_cmp_ne_u32_e32 vcc, v22, v14
	s_mov_b64 s[46:47], -1
	s_mov_b64 s[48:49], 0
	s_and_saveexec_b64 s[44:45], vcc
	s_cbranch_execz .LBB30_51
; %bb.55:                               ;   in Loop: Header=BB30_53 Depth=3
	v_add_u32_e32 v20, 1, v21
	v_and_b32_e32 v20, 0xff, v20
	v_lshl_add_u32 v22, v20, 2, v5
	ds_read_b32 v22, v22
	s_mov_b64 s[50:51], -1
	s_mov_b64 s[48:49], -1
	s_waitcnt lgkmcnt(0)
	v_cmp_ne_u32_e32 vcc, -1, v22
	s_and_saveexec_b64 s[46:47], vcc
	s_cbranch_execz .LBB30_50
; %bb.56:                               ;   in Loop: Header=BB30_53 Depth=3
	v_cmp_ne_u32_e32 vcc, v22, v14
	s_mov_b64 s[54:55], 0
	s_and_saveexec_b64 s[48:49], vcc
	s_cbranch_execz .LBB30_49
; %bb.57:                               ;   in Loop: Header=BB30_53 Depth=3
	v_add_u32_e32 v20, 2, v21
	v_and_b32_e32 v20, 0xff, v20
	v_lshl_add_u32 v22, v20, 2, v5
	ds_read_b32 v22, v22
	s_mov_b64 s[52:53], -1
	s_mov_b64 s[56:57], -1
	s_waitcnt lgkmcnt(0)
	v_cmp_ne_u32_e32 vcc, -1, v22
	s_and_saveexec_b64 s[50:51], vcc
	s_cbranch_execz .LBB30_48
; %bb.58:                               ;   in Loop: Header=BB30_53 Depth=3
	v_cmp_ne_u32_e32 vcc, v22, v14
	s_mov_b64 s[54:55], -1
	s_mov_b64 s[56:57], 0
	s_and_saveexec_b64 s[52:53], vcc
	s_cbranch_execz .LBB30_47
; %bb.59:                               ;   in Loop: Header=BB30_53 Depth=3
	v_add_u32_e32 v20, 3, v21
	v_and_b32_e32 v20, 0xff, v20
	v_lshl_add_u32 v21, v20, 2, v5
	ds_read_b32 v22, v21
	s_mov_b64 s[58:59], -1
	s_mov_b64 s[56:57], -1
                                        ; implicit-def: $vgpr21
	s_waitcnt lgkmcnt(0)
	v_cmp_ne_u32_e32 vcc, -1, v22
	s_and_saveexec_b64 s[54:55], vcc
	s_cbranch_execz .LBB30_46
; %bb.60:                               ;   in Loop: Header=BB30_53 Depth=3
	v_cmp_ne_u32_e32 vcc, v22, v14
	s_mov_b64 s[56:57], 0
                                        ; implicit-def: $vgpr21
	s_and_saveexec_b64 s[60:61], vcc
	s_cbranch_execz .LBB30_45
; %bb.61:                               ;   in Loop: Header=BB30_53 Depth=3
	v_add_u32_e32 v15, -4, v15
	v_cmp_eq_u32_e32 vcc, 0, v15
	s_mov_b64 s[56:57], exec
	v_add_u32_e32 v21, 1, v20
	s_orn2_b64 s[58:59], vcc, exec
	s_branch .LBB30_45
.LBB30_62:                              ;   in Loop: Header=BB30_44 Depth=2
	s_or_b64 exec, exec, s[36:37]
	s_xor_b64 s[30:31], s[30:31], -1
	s_and_saveexec_b64 s[36:37], s[30:31]
	s_xor_b64 s[30:31], exec, s[36:37]
	s_cbranch_execz .LBB30_43
; %bb.63:                               ;   in Loop: Header=BB30_44 Depth=2
	v_lshl_add_u32 v14, v20, 2, v18
	ds_read_b32 v14, v14
	v_lshl_add_u64 v[20:21], v[10:11], 3, s[12:13]
	s_waitcnt lgkmcnt(0)
	v_ashrrev_i32_e32 v15, 31, v14
	v_lshl_add_u64 v[14:15], v[14:15], 3, s[12:13]
	global_load_dwordx2 v[22:23], v[20:21], off
	global_load_dwordx2 v[24:25], v[14:15], off
	s_waitcnt vmcnt(0)
	v_pk_fma_f32 v[20:21], v[8:9], v[22:23], v[24:25] op_sel_hi:[1,0,1] neg_lo:[1,0,0] neg_hi:[1,0,0]
	s_nop 0
	v_pk_fma_f32 v[20:21], v[12:13], v[22:23], v[20:21] op_sel:[0,1,0]
	global_store_dwordx2 v[14:15], v[20:21], off
	s_branch .LBB30_43
.LBB30_64:
	s_or_b64 exec, exec, s[4:5]
	v_cmp_lt_i32_e32 vcc, -1, v4
	s_and_saveexec_b64 s[8:9], vcc
	s_cbranch_execz .LBB30_86
; %bb.65:
	v_mov_b32_e32 v5, 0
	v_lshl_add_u64 v[8:9], v[4:5], 3, s[12:13]
	global_load_dwordx2 v[6:7], v[8:9], off
	s_waitcnt vmcnt(0)
	v_cmp_gt_f32_e32 vcc, 0, v6
	s_nop 1
	v_cndmask_b32_e64 v4, v6, -v6, vcc
	v_cmp_gt_f32_e32 vcc, 0, v7
	s_nop 1
	v_cndmask_b32_e64 v10, v7, -v7, vcc
	v_cmp_ngt_f32_e32 vcc, v4, v10
	s_and_saveexec_b64 s[2:3], vcc
	s_xor_b64 s[4:5], exec, s[2:3]
	s_cbranch_execz .LBB30_69
; %bb.66:
	v_cmp_neq_f32_e32 vcc, 0, v7
	s_and_saveexec_b64 s[10:11], vcc
	s_cbranch_execz .LBB30_68
; %bb.67:
	v_div_scale_f32 v5, s[2:3], v10, v10, v4
	v_rcp_f32_e32 v11, v5
	v_div_scale_f32 v12, vcc, v4, v10, v4
	s_mov_b32 s2, 0xf800000
	v_fma_f32 v13, -v5, v11, 1.0
	v_fmac_f32_e32 v11, v13, v11
	v_mul_f32_e32 v13, v12, v11
	v_fma_f32 v14, -v5, v13, v12
	v_fmac_f32_e32 v13, v14, v11
	v_fma_f32 v5, -v5, v13, v12
	v_div_fmas_f32 v5, v5, v11, v13
	v_div_fixup_f32 v4, v5, v10, v4
	v_fma_f32 v4, v4, v4, 1.0
	v_mul_f32_e32 v5, 0x4f800000, v4
	v_cmp_gt_f32_e32 vcc, s2, v4
	s_nop 1
	v_cndmask_b32_e32 v4, v4, v5, vcc
	v_sqrt_f32_e32 v5, v4
	s_nop 0
	v_add_u32_e32 v11, -1, v5
	v_fma_f32 v12, -v11, v5, v4
	v_cmp_ge_f32_e64 s[2:3], 0, v12
	v_add_u32_e32 v12, 1, v5
	s_nop 0
	v_cndmask_b32_e64 v11, v5, v11, s[2:3]
	v_fma_f32 v5, -v12, v5, v4
	v_cmp_lt_f32_e64 s[2:3], 0, v5
	s_nop 1
	v_cndmask_b32_e64 v5, v11, v12, s[2:3]
	v_mul_f32_e32 v11, 0x37800000, v5
	v_cndmask_b32_e32 v5, v5, v11, vcc
	v_mov_b32_e32 v11, 0x260
	v_cmp_class_f32_e32 vcc, v4, v11
	s_nop 1
	v_cndmask_b32_e32 v4, v5, v4, vcc
	v_mul_f32_e32 v5, v10, v4
.LBB30_68:
	s_or_b64 exec, exec, s[10:11]
                                        ; implicit-def: $vgpr4
                                        ; implicit-def: $vgpr10
.LBB30_69:
	s_andn2_saveexec_b64 s[4:5], s[4:5]
	s_cbranch_execz .LBB30_71
; %bb.70:
	v_div_scale_f32 v5, s[2:3], v4, v4, v10
	v_rcp_f32_e32 v11, v5
	v_div_scale_f32 v12, vcc, v10, v4, v10
	s_mov_b32 s2, 0xf800000
	v_fma_f32 v13, -v5, v11, 1.0
	v_fmac_f32_e32 v11, v13, v11
	v_mul_f32_e32 v13, v12, v11
	v_fma_f32 v14, -v5, v13, v12
	v_fmac_f32_e32 v13, v14, v11
	v_fma_f32 v5, -v5, v13, v12
	v_div_fmas_f32 v5, v5, v11, v13
	v_div_fixup_f32 v5, v5, v4, v10
	v_fma_f32 v5, v5, v5, 1.0
	v_mul_f32_e32 v10, 0x4f800000, v5
	v_cmp_gt_f32_e32 vcc, s2, v5
	s_nop 1
	v_cndmask_b32_e32 v5, v5, v10, vcc
	v_sqrt_f32_e32 v10, v5
	s_nop 0
	v_add_u32_e32 v11, -1, v10
	v_fma_f32 v12, -v11, v10, v5
	v_cmp_ge_f32_e64 s[2:3], 0, v12
	v_add_u32_e32 v12, 1, v10
	s_nop 0
	v_cndmask_b32_e64 v11, v10, v11, s[2:3]
	v_fma_f32 v10, -v12, v10, v5
	v_cmp_lt_f32_e64 s[2:3], 0, v10
	s_nop 1
	v_cndmask_b32_e64 v10, v11, v12, s[2:3]
	v_mul_f32_e32 v11, 0x37800000, v10
	v_cndmask_b32_e32 v10, v10, v11, vcc
	v_mov_b32_e32 v11, 0x260
	v_cmp_class_f32_e32 vcc, v5, v11
	s_nop 1
	v_cndmask_b32_e32 v5, v10, v5, vcc
	v_mul_f32_e32 v5, v4, v5
.LBB30_71:
	s_or_b64 exec, exec, s[4:5]
	v_cvt_f64_f32_e32 v[4:5], v5
	v_cmp_eq_u32_e64 s[4:5], 0, v16
	s_and_b64 vcc, exec, s[6:7]
	s_mov_b64 s[2:3], -1
	s_cbranch_vccnz .LBB30_75
; %bb.72:
	s_cmp_eq_u64 s[24:25], 8
	v_cvt_f64_f32_e32 v[10:11], v17
	s_cselect_b64 vcc, -1, 0
	v_cndmask_b32_e32 v3, v11, v3, vcc
	v_cndmask_b32_e32 v2, v10, v2, vcc
	v_cmp_ge_f64_e32 vcc, v[2:3], v[4:5]
	s_and_b64 s[6:7], s[4:5], vcc
	s_and_saveexec_b64 s[2:3], s[6:7]
	s_cbranch_execz .LBB30_74
; %bb.73:
	v_mov_b32_e32 v2, s33
	v_mov_b32_e32 v3, s35
	global_store_dwordx2 v[8:9], v[2:3], off
	buffer_wbl2 sc1
	s_waitcnt vmcnt(0)
	buffer_inv sc1
.LBB30_74:
	s_or_b64 exec, exec, s[2:3]
	s_mov_b64 s[2:3], 0
.LBB30_75:
	s_andn2_b64 vcc, exec, s[2:3]
	s_cbranch_vccnz .LBB30_86
; %bb.76:
	s_load_dwordx2 s[0:1], s[0:1], 0x48
	v_add_u32_e32 v2, s34, v0
	s_waitcnt lgkmcnt(0)
	v_cmp_ge_f64_e32 vcc, s[0:1], v[4:5]
	s_and_b64 s[2:3], s[4:5], vcc
	s_and_saveexec_b64 s[0:1], s[2:3]
	s_cbranch_execz .LBB30_81
; %bb.77:
	s_mov_b64 s[2:3], exec
	s_brev_b32 s6, -2
.LBB30_78:                              ; =>This Inner Loop Header: Depth=1
	s_ff1_i32_b64 s7, s[2:3]
	v_readlane_b32 s12, v2, s7
	s_lshl_b64 s[10:11], 1, s7
	s_min_i32 s6, s6, s12
	s_andn2_b64 s[2:3], s[2:3], s[10:11]
	s_cmp_lg_u64 s[2:3], 0
	s_cbranch_scc1 .LBB30_78
; %bb.79:
	v_mbcnt_lo_u32_b32 v3, exec_lo, 0
	v_mbcnt_hi_u32_b32 v3, exec_hi, v3
	v_cmp_eq_u32_e32 vcc, 0, v3
	s_and_saveexec_b64 s[2:3], vcc
	s_xor_b64 s[2:3], exec, s[2:3]
	s_cbranch_execz .LBB30_81
; %bb.80:
	v_mov_b32_e32 v3, 0
	v_mov_b32_e32 v4, s6
	global_atomic_smin v3, v4, s[22:23]
.LBB30_81:
	s_or_b64 exec, exec, s[0:1]
	v_cmp_eq_f32_e32 vcc, 0, v6
	v_cmp_eq_f32_e64 s[0:1], 0, v7
	s_and_b64 s[0:1], vcc, s[0:1]
	s_and_b64 s[0:1], s[4:5], s[0:1]
	s_and_b64 exec, exec, s[0:1]
	s_cbranch_execz .LBB30_86
; %bb.82:
	s_mov_b64 s[0:1], exec
	s_brev_b32 s2, -2
.LBB30_83:                              ; =>This Inner Loop Header: Depth=1
	s_ff1_i32_b64 s3, s[0:1]
	v_readlane_b32 s6, v2, s3
	s_lshl_b64 s[4:5], 1, s3
	s_min_i32 s2, s2, s6
	s_andn2_b64 s[0:1], s[0:1], s[4:5]
	s_cmp_lg_u64 s[0:1], 0
	s_cbranch_scc1 .LBB30_83
; %bb.84:
	v_mbcnt_lo_u32_b32 v2, exec_lo, 0
	v_mbcnt_hi_u32_b32 v2, exec_hi, v2
	v_cmp_eq_u32_e32 vcc, 0, v2
	s_and_saveexec_b64 s[0:1], vcc
	s_xor_b64 s[0:1], exec, s[0:1]
	s_cbranch_execz .LBB30_86
; %bb.85:
	v_mov_b32_e32 v2, 0
	v_mov_b32_e32 v3, s2
	global_atomic_smin v2, v3, s[20:21]
.LBB30_86:
	s_or_b64 exec, exec, s[8:9]
	v_cmp_eq_u32_e32 vcc, 0, v16
	buffer_wbl2 sc1
	s_waitcnt vmcnt(0)
	buffer_inv sc1
	s_and_b64 exec, exec, vcc
	s_cbranch_execz .LBB30_88
; %bb.87:
	v_lshl_add_u64 v[0:1], v[0:1], 2, s[16:17]
	v_mov_b32_e32 v2, 1
	buffer_wbl2 sc1
	global_store_dword v[0:1], v2, off sc1
.LBB30_88:
	s_endpgm
	.section	.rodata,"a",@progbits
	.p2align	6, 0x0
	.amdhsa_kernel _ZN9rocsparseL12csrilu0_hashILj256ELj32ELj8E21rocsparse_complex_numIfEEEviPKiS4_PT2_S4_PiS4_S7_S7_d21rocsparse_index_base_imNS_24const_host_device_scalarIfEENS9_IdEENS9_IS5_EEb
		.amdhsa_group_segment_fixed_size 16384
		.amdhsa_private_segment_fixed_size 0
		.amdhsa_kernarg_size 124
		.amdhsa_user_sgpr_count 2
		.amdhsa_user_sgpr_dispatch_ptr 0
		.amdhsa_user_sgpr_queue_ptr 0
		.amdhsa_user_sgpr_kernarg_segment_ptr 1
		.amdhsa_user_sgpr_dispatch_id 0
		.amdhsa_user_sgpr_kernarg_preload_length 0
		.amdhsa_user_sgpr_kernarg_preload_offset 0
		.amdhsa_user_sgpr_private_segment_size 0
		.amdhsa_uses_dynamic_stack 0
		.amdhsa_enable_private_segment 0
		.amdhsa_system_sgpr_workgroup_id_x 1
		.amdhsa_system_sgpr_workgroup_id_y 0
		.amdhsa_system_sgpr_workgroup_id_z 0
		.amdhsa_system_sgpr_workgroup_info 0
		.amdhsa_system_vgpr_workitem_id 0
		.amdhsa_next_free_vgpr 26
		.amdhsa_next_free_sgpr 63
		.amdhsa_accum_offset 28
		.amdhsa_reserve_vcc 1
		.amdhsa_float_round_mode_32 0
		.amdhsa_float_round_mode_16_64 0
		.amdhsa_float_denorm_mode_32 3
		.amdhsa_float_denorm_mode_16_64 3
		.amdhsa_dx10_clamp 1
		.amdhsa_ieee_mode 1
		.amdhsa_fp16_overflow 0
		.amdhsa_tg_split 0
		.amdhsa_exception_fp_ieee_invalid_op 0
		.amdhsa_exception_fp_denorm_src 0
		.amdhsa_exception_fp_ieee_div_zero 0
		.amdhsa_exception_fp_ieee_overflow 0
		.amdhsa_exception_fp_ieee_underflow 0
		.amdhsa_exception_fp_ieee_inexact 0
		.amdhsa_exception_int_div_zero 0
	.end_amdhsa_kernel
	.section	.text._ZN9rocsparseL12csrilu0_hashILj256ELj32ELj8E21rocsparse_complex_numIfEEEviPKiS4_PT2_S4_PiS4_S7_S7_d21rocsparse_index_base_imNS_24const_host_device_scalarIfEENS9_IdEENS9_IS5_EEb,"axG",@progbits,_ZN9rocsparseL12csrilu0_hashILj256ELj32ELj8E21rocsparse_complex_numIfEEEviPKiS4_PT2_S4_PiS4_S7_S7_d21rocsparse_index_base_imNS_24const_host_device_scalarIfEENS9_IdEENS9_IS5_EEb,comdat
.Lfunc_end30:
	.size	_ZN9rocsparseL12csrilu0_hashILj256ELj32ELj8E21rocsparse_complex_numIfEEEviPKiS4_PT2_S4_PiS4_S7_S7_d21rocsparse_index_base_imNS_24const_host_device_scalarIfEENS9_IdEENS9_IS5_EEb, .Lfunc_end30-_ZN9rocsparseL12csrilu0_hashILj256ELj32ELj8E21rocsparse_complex_numIfEEEviPKiS4_PT2_S4_PiS4_S7_S7_d21rocsparse_index_base_imNS_24const_host_device_scalarIfEENS9_IdEENS9_IS5_EEb
                                        ; -- End function
	.set _ZN9rocsparseL12csrilu0_hashILj256ELj32ELj8E21rocsparse_complex_numIfEEEviPKiS4_PT2_S4_PiS4_S7_S7_d21rocsparse_index_base_imNS_24const_host_device_scalarIfEENS9_IdEENS9_IS5_EEb.num_vgpr, 26
	.set _ZN9rocsparseL12csrilu0_hashILj256ELj32ELj8E21rocsparse_complex_numIfEEEviPKiS4_PT2_S4_PiS4_S7_S7_d21rocsparse_index_base_imNS_24const_host_device_scalarIfEENS9_IdEENS9_IS5_EEb.num_agpr, 0
	.set _ZN9rocsparseL12csrilu0_hashILj256ELj32ELj8E21rocsparse_complex_numIfEEEviPKiS4_PT2_S4_PiS4_S7_S7_d21rocsparse_index_base_imNS_24const_host_device_scalarIfEENS9_IdEENS9_IS5_EEb.numbered_sgpr, 63
	.set _ZN9rocsparseL12csrilu0_hashILj256ELj32ELj8E21rocsparse_complex_numIfEEEviPKiS4_PT2_S4_PiS4_S7_S7_d21rocsparse_index_base_imNS_24const_host_device_scalarIfEENS9_IdEENS9_IS5_EEb.num_named_barrier, 0
	.set _ZN9rocsparseL12csrilu0_hashILj256ELj32ELj8E21rocsparse_complex_numIfEEEviPKiS4_PT2_S4_PiS4_S7_S7_d21rocsparse_index_base_imNS_24const_host_device_scalarIfEENS9_IdEENS9_IS5_EEb.private_seg_size, 0
	.set _ZN9rocsparseL12csrilu0_hashILj256ELj32ELj8E21rocsparse_complex_numIfEEEviPKiS4_PT2_S4_PiS4_S7_S7_d21rocsparse_index_base_imNS_24const_host_device_scalarIfEENS9_IdEENS9_IS5_EEb.uses_vcc, 1
	.set _ZN9rocsparseL12csrilu0_hashILj256ELj32ELj8E21rocsparse_complex_numIfEEEviPKiS4_PT2_S4_PiS4_S7_S7_d21rocsparse_index_base_imNS_24const_host_device_scalarIfEENS9_IdEENS9_IS5_EEb.uses_flat_scratch, 0
	.set _ZN9rocsparseL12csrilu0_hashILj256ELj32ELj8E21rocsparse_complex_numIfEEEviPKiS4_PT2_S4_PiS4_S7_S7_d21rocsparse_index_base_imNS_24const_host_device_scalarIfEENS9_IdEENS9_IS5_EEb.has_dyn_sized_stack, 0
	.set _ZN9rocsparseL12csrilu0_hashILj256ELj32ELj8E21rocsparse_complex_numIfEEEviPKiS4_PT2_S4_PiS4_S7_S7_d21rocsparse_index_base_imNS_24const_host_device_scalarIfEENS9_IdEENS9_IS5_EEb.has_recursion, 0
	.set _ZN9rocsparseL12csrilu0_hashILj256ELj32ELj8E21rocsparse_complex_numIfEEEviPKiS4_PT2_S4_PiS4_S7_S7_d21rocsparse_index_base_imNS_24const_host_device_scalarIfEENS9_IdEENS9_IS5_EEb.has_indirect_call, 0
	.section	.AMDGPU.csdata,"",@progbits
; Kernel info:
; codeLenInByte = 3124
; TotalNumSgprs: 69
; NumVgprs: 26
; NumAgprs: 0
; TotalNumVgprs: 26
; ScratchSize: 0
; MemoryBound: 0
; FloatMode: 240
; IeeeMode: 1
; LDSByteSize: 16384 bytes/workgroup (compile time only)
; SGPRBlocks: 8
; VGPRBlocks: 3
; NumSGPRsForWavesPerEU: 69
; NumVGPRsForWavesPerEU: 26
; AccumOffset: 28
; Occupancy: 8
; WaveLimiterHint : 1
; COMPUTE_PGM_RSRC2:SCRATCH_EN: 0
; COMPUTE_PGM_RSRC2:USER_SGPR: 2
; COMPUTE_PGM_RSRC2:TRAP_HANDLER: 0
; COMPUTE_PGM_RSRC2:TGID_X_EN: 1
; COMPUTE_PGM_RSRC2:TGID_Y_EN: 0
; COMPUTE_PGM_RSRC2:TGID_Z_EN: 0
; COMPUTE_PGM_RSRC2:TIDIG_COMP_CNT: 0
; COMPUTE_PGM_RSRC3_GFX90A:ACCUM_OFFSET: 6
; COMPUTE_PGM_RSRC3_GFX90A:TG_SPLIT: 0
	.section	.text._ZN9rocsparseL12csrilu0_hashILj256ELj32ELj16E21rocsparse_complex_numIfEEEviPKiS4_PT2_S4_PiS4_S7_S7_d21rocsparse_index_base_imNS_24const_host_device_scalarIfEENS9_IdEENS9_IS5_EEb,"axG",@progbits,_ZN9rocsparseL12csrilu0_hashILj256ELj32ELj16E21rocsparse_complex_numIfEEEviPKiS4_PT2_S4_PiS4_S7_S7_d21rocsparse_index_base_imNS_24const_host_device_scalarIfEENS9_IdEENS9_IS5_EEb,comdat
	.globl	_ZN9rocsparseL12csrilu0_hashILj256ELj32ELj16E21rocsparse_complex_numIfEEEviPKiS4_PT2_S4_PiS4_S7_S7_d21rocsparse_index_base_imNS_24const_host_device_scalarIfEENS9_IdEENS9_IS5_EEb ; -- Begin function _ZN9rocsparseL12csrilu0_hashILj256ELj32ELj16E21rocsparse_complex_numIfEEEviPKiS4_PT2_S4_PiS4_S7_S7_d21rocsparse_index_base_imNS_24const_host_device_scalarIfEENS9_IdEENS9_IS5_EEb
	.p2align	8
	.type	_ZN9rocsparseL12csrilu0_hashILj256ELj32ELj16E21rocsparse_complex_numIfEEEviPKiS4_PT2_S4_PiS4_S7_S7_d21rocsparse_index_base_imNS_24const_host_device_scalarIfEENS9_IdEENS9_IS5_EEb,@function
_ZN9rocsparseL12csrilu0_hashILj256ELj32ELj16E21rocsparse_complex_numIfEEEviPKiS4_PT2_S4_PiS4_S7_S7_d21rocsparse_index_base_imNS_24const_host_device_scalarIfEENS9_IdEENS9_IS5_EEb: ; @_ZN9rocsparseL12csrilu0_hashILj256ELj32ELj16E21rocsparse_complex_numIfEEEviPKiS4_PT2_S4_PiS4_S7_S7_d21rocsparse_index_base_imNS_24const_host_device_scalarIfEENS9_IdEENS9_IS5_EEb
; %bb.0:
	s_load_dword s3, s[0:1], 0x78
	s_load_dwordx2 s[34:35], s[0:1], 0x50
	s_load_dwordx8 s[24:31], s[0:1], 0x58
	s_waitcnt lgkmcnt(0)
	s_bitcmp1_b32 s3, 0
	s_cselect_b64 s[4:5], -1, 0
	s_cmp_eq_u32 s35, 0
	s_cselect_b64 s[12:13], -1, 0
	s_cmp_lg_u32 s35, 0
	s_cselect_b64 s[8:9], -1, 0
	s_or_b64 s[14:15], s[12:13], s[4:5]
	s_xor_b64 s[6:7], s[14:15], -1
	s_and_b64 s[10:11], s[12:13], exec
	s_cselect_b32 s11, 0, s29
	s_cselect_b32 s10, 0, s28
	s_and_b64 vcc, exec, s[14:15]
	s_cbranch_vccnz .LBB31_2
; %bb.1:
	s_load_dword s3, s[26:27], 0x0
	s_mov_b64 s[10:11], s[28:29]
	s_waitcnt lgkmcnt(0)
	v_mov_b32_e32 v17, s3
	s_andn2_b64 vcc, exec, s[6:7]
	v_mov_b64_e32 v[4:5], s[10:11]
	s_cbranch_vccz .LBB31_3
	s_branch .LBB31_4
.LBB31_2:
	v_mov_b32_e32 v1, s26
	v_cndmask_b32_e64 v17, v1, 0, s[12:13]
	s_andn2_b64 vcc, exec, s[6:7]
	v_mov_b64_e32 v[4:5], s[10:11]
	s_cbranch_vccnz .LBB31_4
.LBB31_3:
	v_mov_b64_e32 v[2:3], s[28:29]
	flat_load_dwordx2 v[4:5], v[2:3]
.LBB31_4:
	v_cndmask_b32_e64 v1, 0, 1, s[8:9]
	s_mov_b32 s33, 0
	v_cmp_ne_u32_e64 s[6:7], 1, v1
	s_andn2_b64 vcc, exec, s[8:9]
	s_mov_b32 s35, 0
	s_cbranch_vccnz .LBB31_10
; %bb.5:
	s_xor_b64 s[8:9], s[4:5], -1
	v_cndmask_b32_e64 v1, 0, 1, s[8:9]
	v_cmp_ne_u32_e64 s[4:5], 1, v1
	s_andn2_b64 vcc, exec, s[8:9]
	s_mov_b32 s33, s30
	s_cbranch_vccnz .LBB31_7
; %bb.6:
	s_load_dword s33, s[30:31], 0x0
.LBB31_7:
	s_and_b64 vcc, exec, s[4:5]
	s_cbranch_vccnz .LBB31_9
; %bb.8:
	s_load_dword s31, s[30:31], 0x4
.LBB31_9:
	s_waitcnt lgkmcnt(0)
	s_mov_b32 s35, s31
.LBB31_10:
	v_and_b32_e32 v16, 31, v0
	v_lshrrev_b32_e32 v1, 5, v0
	v_lshlrev_b32_e32 v3, 11, v1
	v_lshlrev_b32_e32 v6, 2, v16
	s_movk_i32 s3, 0x4000
	v_or_b32_e32 v2, 0xffffffe0, v16
	v_or3_b32 v3, v3, v6, s3
	s_mov_b64 s[4:5], 0
	v_mov_b32_e32 v6, -1
	s_movk_i32 s3, 0x1df
.LBB31_11:                              ; =>This Inner Loop Header: Depth=1
	v_add_u32_e32 v2, 32, v2
	v_cmp_lt_u32_e32 vcc, s3, v2
	ds_write_b32 v3, v6
	s_or_b64 s[4:5], vcc, s[4:5]
	v_add_u32_e32 v3, 0x80, v3
	s_andn2_b64 exec, exec, s[4:5]
	s_cbranch_execnz .LBB31_11
; %bb.12:
	s_or_b64 exec, exec, s[4:5]
	s_load_dword s3, s[0:1], 0x0
	s_lshl_b32 s2, s2, 3
	s_and_b32 s2, s2, 0x7fffff8
	v_or_b32_e32 v1, s2, v1
	s_waitcnt lgkmcnt(0)
	v_cmp_gt_i32_e32 vcc, s3, v1
	s_and_saveexec_b64 s[2:3], vcc
	s_cbranch_execz .LBB31_90
; %bb.13:
	s_load_dwordx16 s[8:23], s[0:1], 0x8
	v_lshlrev_b32_e32 v1, 2, v1
	v_lshlrev_b32_e32 v0, 6, v0
	s_waitcnt lgkmcnt(0)
	global_load_dword v2, v1, s[18:19]
	s_waitcnt vmcnt(0)
	v_ashrrev_i32_e32 v3, 31, v2
	v_lshlrev_b64 v[6:7], 2, v[2:3]
	v_lshl_add_u64 v[8:9], s[8:9], 0, v[6:7]
	global_load_dwordx2 v[8:9], v[8:9], off
	v_lshl_add_u64 v[6:7], s[14:15], 0, v[6:7]
	global_load_dword v6, v[6:7], off
	v_and_b32_e32 v7, 0x3800, v0
	v_or_b32_e32 v18, 0x4000, v7
	s_waitcnt vmcnt(1)
	v_subrev_u32_e32 v0, s34, v8
	v_subrev_u32_e32 v1, s34, v9
	v_add_u32_e32 v8, v0, v16
	v_cmp_lt_i32_e32 vcc, v8, v1
	s_and_saveexec_b64 s[2:3], vcc
	s_cbranch_execz .LBB31_36
; %bb.14:
	s_mov_b64 s[4:5], 0
	s_movk_i32 s56, 0x67
	v_mov_b32_e32 v10, -1
	s_branch .LBB31_16
.LBB31_15:                              ;   in Loop: Header=BB31_16 Depth=1
	s_or_b64 exec, exec, s[18:19]
	v_add_u32_e32 v8, 32, v8
	v_cmp_ge_i32_e32 vcc, v8, v1
	s_or_b64 s[4:5], vcc, s[4:5]
	s_andn2_b64 exec, exec, s[4:5]
	s_cbranch_execz .LBB31_36
.LBB31_16:                              ; =>This Loop Header: Depth=1
                                        ;     Child Loop BB31_25 Depth 2
	v_ashrrev_i32_e32 v9, 31, v8
	v_lshl_add_u64 v[12:13], v[8:9], 2, s[10:11]
	global_load_dword v9, v[12:13], off
	v_mov_b32_e32 v11, 0x200
	s_mov_b64 s[26:27], 0
                                        ; implicit-def: $sgpr18_sgpr19
                                        ; implicit-def: $sgpr28_sgpr29
                                        ; implicit-def: $sgpr30_sgpr31
	s_waitcnt vmcnt(0)
	v_mul_lo_u32 v13, v9, s56
	s_branch .LBB31_25
.LBB31_17:                              ;   in Loop: Header=BB31_25 Depth=2
	s_or_b64 exec, exec, s[54:55]
	s_orn2_b64 s[50:51], s[50:51], exec
	s_orn2_b64 s[52:53], s[52:53], exec
.LBB31_18:                              ;   in Loop: Header=BB31_25 Depth=2
	s_or_b64 exec, exec, s[48:49]
	s_and_b64 s[50:51], s[50:51], exec
	s_orn2_b64 s[48:49], s[52:53], exec
.LBB31_19:                              ;   in Loop: Header=BB31_25 Depth=2
	s_or_b64 exec, exec, s[46:47]
	s_orn2_b64 s[50:51], s[50:51], exec
	s_orn2_b64 s[46:47], s[48:49], exec
.LBB31_20:                              ;   in Loop: Header=BB31_25 Depth=2
	s_or_b64 exec, exec, s[44:45]
	s_and_b64 s[48:49], s[50:51], exec
	s_orn2_b64 s[44:45], s[46:47], exec
.LBB31_21:                              ;   in Loop: Header=BB31_25 Depth=2
	s_or_b64 exec, exec, s[42:43]
	s_orn2_b64 s[42:43], s[48:49], exec
	s_orn2_b64 s[44:45], s[44:45], exec
.LBB31_22:                              ;   in Loop: Header=BB31_25 Depth=2
	s_or_b64 exec, exec, s[40:41]
	s_and_b64 s[42:43], s[42:43], exec
	s_orn2_b64 s[40:41], s[44:45], exec
.LBB31_23:                              ;   in Loop: Header=BB31_25 Depth=2
	s_or_b64 exec, exec, s[38:39]
	s_andn2_b64 s[30:31], s[30:31], exec
	s_and_b64 s[38:39], s[42:43], exec
	s_or_b64 s[30:31], s[30:31], s[38:39]
	s_andn2_b64 s[28:29], s[28:29], exec
	s_and_b64 s[38:39], s[40:41], exec
	s_or_b64 s[28:29], s[28:29], s[38:39]
.LBB31_24:                              ;   in Loop: Header=BB31_25 Depth=2
	s_or_b64 exec, exec, s[36:37]
	s_and_b64 s[36:37], exec, s[28:29]
	s_or_b64 s[26:27], s[36:37], s[26:27]
	s_andn2_b64 s[18:19], s[18:19], exec
	s_and_b64 s[36:37], s[30:31], exec
	s_or_b64 s[18:19], s[18:19], s[36:37]
	s_andn2_b64 exec, exec, s[26:27]
	s_cbranch_execz .LBB31_34
.LBB31_25:                              ;   Parent Loop BB31_16 Depth=1
                                        ; =>  This Inner Loop Header: Depth=2
	v_and_b32_e32 v12, 0x1ff, v13
	v_lshl_add_u32 v14, v12, 2, v18
	ds_read_b32 v15, v14
	s_or_b64 s[30:31], s[30:31], exec
	s_or_b64 s[28:29], s[28:29], exec
	s_waitcnt lgkmcnt(0)
	v_cmp_ne_u32_e32 vcc, v15, v9
	s_and_saveexec_b64 s[36:37], vcc
	s_cbranch_execz .LBB31_24
; %bb.26:                               ;   in Loop: Header=BB31_25 Depth=2
	ds_cmpst_rtn_b32 v14, v14, v10, v9
	s_mov_b64 s[40:41], -1
	s_mov_b64 s[42:43], 0
	s_waitcnt lgkmcnt(0)
	v_cmp_ne_u32_e32 vcc, -1, v14
	s_and_saveexec_b64 s[38:39], vcc
	s_cbranch_execz .LBB31_23
; %bb.27:                               ;   in Loop: Header=BB31_25 Depth=2
	v_add_u32_e32 v12, 1, v13
	v_and_b32_e32 v12, 0x1ff, v12
	v_lshl_add_u32 v14, v12, 2, v18
	ds_read_b32 v15, v14
	s_mov_b64 s[44:45], -1
	s_mov_b64 s[42:43], -1
	s_waitcnt lgkmcnt(0)
	v_cmp_ne_u32_e32 vcc, v15, v9
	s_and_saveexec_b64 s[40:41], vcc
	s_cbranch_execz .LBB31_22
; %bb.28:                               ;   in Loop: Header=BB31_25 Depth=2
	ds_cmpst_rtn_b32 v14, v14, v10, v9
	s_mov_b64 s[48:49], 0
	s_waitcnt lgkmcnt(0)
	v_cmp_ne_u32_e32 vcc, -1, v14
	s_and_saveexec_b64 s[42:43], vcc
	s_cbranch_execz .LBB31_21
; %bb.29:                               ;   in Loop: Header=BB31_25 Depth=2
	v_add_u32_e32 v12, 2, v13
	v_and_b32_e32 v12, 0x1ff, v12
	v_lshl_add_u32 v14, v12, 2, v18
	ds_read_b32 v15, v14
	s_mov_b64 s[46:47], -1
	s_mov_b64 s[50:51], -1
	s_waitcnt lgkmcnt(0)
	v_cmp_ne_u32_e32 vcc, v15, v9
	s_and_saveexec_b64 s[44:45], vcc
	s_cbranch_execz .LBB31_20
; %bb.30:                               ;   in Loop: Header=BB31_25 Depth=2
	ds_cmpst_rtn_b32 v14, v14, v10, v9
	s_mov_b64 s[48:49], -1
	s_mov_b64 s[50:51], 0
	s_waitcnt lgkmcnt(0)
	v_cmp_ne_u32_e32 vcc, -1, v14
	s_and_saveexec_b64 s[46:47], vcc
	s_cbranch_execz .LBB31_19
; %bb.31:                               ;   in Loop: Header=BB31_25 Depth=2
	v_add_u32_e32 v12, 3, v13
	v_and_b32_e32 v12, 0x1ff, v12
	v_lshl_add_u32 v14, v12, 2, v18
	ds_read_b32 v13, v14
	s_mov_b64 s[52:53], -1
	s_mov_b64 s[50:51], -1
	s_waitcnt lgkmcnt(0)
	v_cmp_ne_u32_e32 vcc, v13, v9
                                        ; implicit-def: $vgpr13
	s_and_saveexec_b64 s[48:49], vcc
	s_cbranch_execz .LBB31_18
; %bb.32:                               ;   in Loop: Header=BB31_25 Depth=2
	ds_cmpst_rtn_b32 v13, v14, v10, v9
	s_mov_b64 s[50:51], 0
	s_waitcnt lgkmcnt(0)
	v_cmp_ne_u32_e32 vcc, -1, v13
                                        ; implicit-def: $vgpr13
	s_and_saveexec_b64 s[54:55], vcc
	s_cbranch_execz .LBB31_17
; %bb.33:                               ;   in Loop: Header=BB31_25 Depth=2
	v_add_u32_e32 v11, -4, v11
	v_cmp_eq_u32_e32 vcc, 0, v11
	s_mov_b64 s[50:51], exec
	v_add_u32_e32 v13, 1, v12
	s_orn2_b64 s[52:53], vcc, exec
	s_branch .LBB31_17
.LBB31_34:                              ;   in Loop: Header=BB31_16 Depth=1
	s_or_b64 exec, exec, s[26:27]
	s_xor_b64 s[18:19], s[18:19], -1
	s_and_saveexec_b64 s[26:27], s[18:19]
	s_xor_b64 s[18:19], exec, s[26:27]
	s_cbranch_execz .LBB31_15
; %bb.35:                               ;   in Loop: Header=BB31_16 Depth=1
	v_lshl_add_u32 v9, v12, 2, v7
	ds_write_b32 v9, v8
	s_branch .LBB31_15
.LBB31_36:
	s_or_b64 exec, exec, s[2:3]
	s_waitcnt vmcnt(0)
	v_cmp_lt_i32_e32 vcc, v0, v6
	s_waitcnt lgkmcnt(0)
	s_and_saveexec_b64 s[4:5], vcc
	s_cbranch_execz .LBB31_66
; %bb.37:
	v_add_u32_e32 v19, 1, v16
	s_mov_b64 s[18:19], 0
	s_movk_i32 s62, 0x67
	s_branch .LBB31_40
.LBB31_38:                              ;   in Loop: Header=BB31_40 Depth=1
	s_or_b64 exec, exec, s[26:27]
	v_add_u32_e32 v0, 1, v0
	v_cmp_ge_i32_e32 vcc, v0, v6
	s_orn2_b64 s[26:27], vcc, exec
.LBB31_39:                              ;   in Loop: Header=BB31_40 Depth=1
	s_or_b64 exec, exec, s[2:3]
	s_and_b64 s[2:3], exec, s[26:27]
	s_or_b64 s[18:19], s[2:3], s[18:19]
	s_andn2_b64 exec, exec, s[18:19]
	s_cbranch_execz .LBB31_66
.LBB31_40:                              ; =>This Loop Header: Depth=1
                                        ;     Child Loop BB31_41 Depth 2
                                        ;     Child Loop BB31_46 Depth 2
                                        ;       Child Loop BB31_55 Depth 3
	v_ashrrev_i32_e32 v1, 31, v0
	v_lshl_add_u64 v[8:9], v[0:1], 2, s[10:11]
	global_load_dword v12, v[8:9], off
	v_lshl_add_u64 v[10:11], v[0:1], 3, s[12:13]
	global_load_dwordx2 v[8:9], v[10:11], off
	s_mov_b64 s[2:3], 0
	s_waitcnt vmcnt(1)
	v_subrev_u32_e32 v12, s34, v12
	v_ashrrev_i32_e32 v13, 31, v12
	v_lshlrev_b64 v[12:13], 2, v[12:13]
	v_lshl_add_u64 v[20:21], s[8:9], 0, v[12:13]
	v_lshl_add_u64 v[22:23], s[14:15], 0, v[12:13]
	global_load_dword v1, v[20:21], off offset:4
	global_load_dword v14, v[22:23], off
	v_lshl_add_u64 v[12:13], s[16:17], 0, v[12:13]
.LBB31_41:                              ;   Parent Loop BB31_40 Depth=1
                                        ; =>  This Inner Loop Header: Depth=2
	global_load_dword v15, v[12:13], off sc1
	s_waitcnt vmcnt(0)
	v_cmp_ne_u32_e32 vcc, 0, v15
	s_or_b64 s[2:3], vcc, s[2:3]
	s_andn2_b64 exec, exec, s[2:3]
	s_cbranch_execnz .LBB31_41
; %bb.42:                               ;   in Loop: Header=BB31_40 Depth=1
	s_or_b64 exec, exec, s[2:3]
	v_subrev_u32_e32 v1, s34, v1
	v_add_u32_e32 v12, -1, v1
	v_cmp_eq_u32_e32 vcc, -1, v14
	buffer_inv sc1
	s_mov_b64 s[26:27], -1
	v_cndmask_b32_e32 v12, v14, v12, vcc
	v_ashrrev_i32_e32 v13, 31, v12
	v_lshl_add_u64 v[14:15], v[12:13], 3, s[12:13]
	global_load_dwordx2 v[14:15], v[14:15], off
	s_waitcnt vmcnt(0)
	v_cmp_neq_f32_e32 vcc, 0, v14
	v_cmp_neq_f32_e64 s[2:3], 0, v15
	s_or_b64 s[28:29], vcc, s[2:3]
	s_and_saveexec_b64 s[2:3], s[28:29]
	s_cbranch_execz .LBB31_39
; %bb.43:                               ;   in Loop: Header=BB31_40 Depth=1
	v_mul_f32_e32 v13, v15, v15
	v_fmac_f32_e32 v13, v14, v14
	v_div_scale_f32 v20, s[26:27], v13, v13, 1.0
	v_rcp_f32_e32 v21, v20
	v_div_scale_f32 v22, vcc, 1.0, v13, 1.0
	v_fma_f32 v23, -v20, v21, 1.0
	v_fmac_f32_e32 v21, v23, v21
	v_mul_f32_e32 v23, v22, v21
	v_fma_f32 v24, -v20, v23, v22
	v_fmac_f32_e32 v23, v24, v21
	v_fma_f32 v20, -v20, v23, v22
	v_div_fmas_f32 v20, v20, v21, v23
	v_xor_b32_e32 v23, 0x80000000, v8
	v_mov_b32_e32 v22, v9
	v_mov_b32_e32 v24, v15
	v_pk_mul_f32 v[22:23], v[22:23], v[24:25] op_sel_hi:[1,0]
	v_div_fixup_f32 v20, v20, v13, 1.0
	v_pk_fma_f32 v[8:9], v[8:9], v[14:15], v[22:23] op_sel_hi:[1,0,1]
	s_nop 0
	v_pk_mul_f32 v[8:9], v[8:9], v[20:21] op_sel_hi:[1,0]
	global_store_dwordx2 v[10:11], v[8:9], off
	v_add_u32_e32 v10, v19, v12
	v_cmp_lt_i32_e32 vcc, v10, v1
	s_and_saveexec_b64 s[26:27], vcc
	s_cbranch_execz .LBB31_38
; %bb.44:                               ;   in Loop: Header=BB31_40 Depth=1
	v_pk_add_f32 v[12:13], v[8:9], 0 neg_lo:[1,1] neg_hi:[1,1]
	s_mov_b64 s[28:29], 0
	v_pk_mov_b32 v[12:13], v[8:9], v[12:13] op_sel:[1,0]
	s_branch .LBB31_46
.LBB31_45:                              ;   in Loop: Header=BB31_46 Depth=2
	s_or_b64 exec, exec, s[30:31]
	v_add_u32_e32 v10, 32, v10
	v_cmp_ge_i32_e32 vcc, v10, v1
	s_or_b64 s[28:29], vcc, s[28:29]
	s_andn2_b64 exec, exec, s[28:29]
	s_cbranch_execz .LBB31_38
.LBB31_46:                              ;   Parent Loop BB31_40 Depth=1
                                        ; =>  This Loop Header: Depth=2
                                        ;       Child Loop BB31_55 Depth 3
	v_ashrrev_i32_e32 v11, 31, v10
	v_lshl_add_u64 v[14:15], v[10:11], 2, s[10:11]
	global_load_dword v14, v[14:15], off
	v_mov_b32_e32 v15, 0x200
	s_mov_b64 s[36:37], 0
                                        ; implicit-def: $sgpr30_sgpr31
                                        ; implicit-def: $sgpr38_sgpr39
                                        ; implicit-def: $sgpr40_sgpr41
	s_waitcnt vmcnt(0)
	v_mul_lo_u32 v21, v14, s62
	s_branch .LBB31_55
.LBB31_47:                              ;   in Loop: Header=BB31_55 Depth=3
	s_or_b64 exec, exec, s[60:61]
	s_orn2_b64 s[56:57], s[56:57], exec
	s_orn2_b64 s[58:59], s[58:59], exec
.LBB31_48:                              ;   in Loop: Header=BB31_55 Depth=3
	s_or_b64 exec, exec, s[54:55]
	s_and_b64 s[56:57], s[56:57], exec
	s_orn2_b64 s[54:55], s[58:59], exec
.LBB31_49:                              ;   in Loop: Header=BB31_55 Depth=3
	s_or_b64 exec, exec, s[52:53]
	s_orn2_b64 s[56:57], s[56:57], exec
	s_orn2_b64 s[52:53], s[54:55], exec
.LBB31_50:                              ;   in Loop: Header=BB31_55 Depth=3
	s_or_b64 exec, exec, s[50:51]
	s_and_b64 s[54:55], s[56:57], exec
	s_orn2_b64 s[50:51], s[52:53], exec
.LBB31_51:                              ;   in Loop: Header=BB31_55 Depth=3
	s_or_b64 exec, exec, s[48:49]
	s_orn2_b64 s[48:49], s[54:55], exec
	s_orn2_b64 s[50:51], s[50:51], exec
.LBB31_52:                              ;   in Loop: Header=BB31_55 Depth=3
	s_or_b64 exec, exec, s[46:47]
	s_and_b64 s[48:49], s[48:49], exec
	s_orn2_b64 s[46:47], s[50:51], exec
.LBB31_53:                              ;   in Loop: Header=BB31_55 Depth=3
	s_or_b64 exec, exec, s[44:45]
	s_andn2_b64 s[40:41], s[40:41], exec
	s_and_b64 s[44:45], s[48:49], exec
	s_or_b64 s[40:41], s[40:41], s[44:45]
	s_andn2_b64 s[38:39], s[38:39], exec
	s_and_b64 s[44:45], s[46:47], exec
	s_or_b64 s[38:39], s[38:39], s[44:45]
.LBB31_54:                              ;   in Loop: Header=BB31_55 Depth=3
	s_or_b64 exec, exec, s[42:43]
	s_and_b64 s[42:43], exec, s[38:39]
	s_or_b64 s[36:37], s[42:43], s[36:37]
	s_andn2_b64 s[30:31], s[30:31], exec
	s_and_b64 s[42:43], s[40:41], exec
	s_or_b64 s[30:31], s[30:31], s[42:43]
	s_andn2_b64 exec, exec, s[36:37]
	s_cbranch_execz .LBB31_64
.LBB31_55:                              ;   Parent Loop BB31_40 Depth=1
                                        ;     Parent Loop BB31_46 Depth=2
                                        ; =>    This Inner Loop Header: Depth=3
	v_and_b32_e32 v20, 0x1ff, v21
	v_lshl_add_u32 v22, v20, 2, v18
	ds_read_b32 v22, v22
	s_or_b64 s[40:41], s[40:41], exec
	s_or_b64 s[38:39], s[38:39], exec
	s_waitcnt lgkmcnt(0)
	v_cmp_ne_u32_e32 vcc, -1, v22
	s_and_saveexec_b64 s[42:43], vcc
	s_cbranch_execz .LBB31_54
; %bb.56:                               ;   in Loop: Header=BB31_55 Depth=3
	v_cmp_ne_u32_e32 vcc, v22, v14
	s_mov_b64 s[46:47], -1
	s_mov_b64 s[48:49], 0
	s_and_saveexec_b64 s[44:45], vcc
	s_cbranch_execz .LBB31_53
; %bb.57:                               ;   in Loop: Header=BB31_55 Depth=3
	v_add_u32_e32 v20, 1, v21
	v_and_b32_e32 v20, 0x1ff, v20
	v_lshl_add_u32 v22, v20, 2, v18
	ds_read_b32 v22, v22
	s_mov_b64 s[50:51], -1
	s_mov_b64 s[48:49], -1
	s_waitcnt lgkmcnt(0)
	v_cmp_ne_u32_e32 vcc, -1, v22
	s_and_saveexec_b64 s[46:47], vcc
	s_cbranch_execz .LBB31_52
; %bb.58:                               ;   in Loop: Header=BB31_55 Depth=3
	v_cmp_ne_u32_e32 vcc, v22, v14
	s_mov_b64 s[54:55], 0
	s_and_saveexec_b64 s[48:49], vcc
	s_cbranch_execz .LBB31_51
; %bb.59:                               ;   in Loop: Header=BB31_55 Depth=3
	v_add_u32_e32 v20, 2, v21
	v_and_b32_e32 v20, 0x1ff, v20
	v_lshl_add_u32 v22, v20, 2, v18
	ds_read_b32 v22, v22
	s_mov_b64 s[52:53], -1
	s_mov_b64 s[56:57], -1
	s_waitcnt lgkmcnt(0)
	v_cmp_ne_u32_e32 vcc, -1, v22
	s_and_saveexec_b64 s[50:51], vcc
	s_cbranch_execz .LBB31_50
; %bb.60:                               ;   in Loop: Header=BB31_55 Depth=3
	v_cmp_ne_u32_e32 vcc, v22, v14
	s_mov_b64 s[54:55], -1
	s_mov_b64 s[56:57], 0
	s_and_saveexec_b64 s[52:53], vcc
	s_cbranch_execz .LBB31_49
; %bb.61:                               ;   in Loop: Header=BB31_55 Depth=3
	v_add_u32_e32 v20, 3, v21
	v_and_b32_e32 v20, 0x1ff, v20
	v_lshl_add_u32 v21, v20, 2, v18
	ds_read_b32 v22, v21
	s_mov_b64 s[58:59], -1
	s_mov_b64 s[56:57], -1
                                        ; implicit-def: $vgpr21
	s_waitcnt lgkmcnt(0)
	v_cmp_ne_u32_e32 vcc, -1, v22
	s_and_saveexec_b64 s[54:55], vcc
	s_cbranch_execz .LBB31_48
; %bb.62:                               ;   in Loop: Header=BB31_55 Depth=3
	v_cmp_ne_u32_e32 vcc, v22, v14
	s_mov_b64 s[56:57], 0
                                        ; implicit-def: $vgpr21
	s_and_saveexec_b64 s[60:61], vcc
	s_cbranch_execz .LBB31_47
; %bb.63:                               ;   in Loop: Header=BB31_55 Depth=3
	v_add_u32_e32 v15, -4, v15
	v_cmp_eq_u32_e32 vcc, 0, v15
	s_mov_b64 s[56:57], exec
	v_add_u32_e32 v21, 1, v20
	s_orn2_b64 s[58:59], vcc, exec
	s_branch .LBB31_47
.LBB31_64:                              ;   in Loop: Header=BB31_46 Depth=2
	s_or_b64 exec, exec, s[36:37]
	s_xor_b64 s[30:31], s[30:31], -1
	s_and_saveexec_b64 s[36:37], s[30:31]
	s_xor_b64 s[30:31], exec, s[36:37]
	s_cbranch_execz .LBB31_45
; %bb.65:                               ;   in Loop: Header=BB31_46 Depth=2
	v_lshl_add_u32 v14, v20, 2, v7
	ds_read_b32 v14, v14
	v_lshl_add_u64 v[20:21], v[10:11], 3, s[12:13]
	s_waitcnt lgkmcnt(0)
	v_ashrrev_i32_e32 v15, 31, v14
	v_lshl_add_u64 v[14:15], v[14:15], 3, s[12:13]
	global_load_dwordx2 v[22:23], v[20:21], off
	global_load_dwordx2 v[24:25], v[14:15], off
	s_waitcnt vmcnt(0)
	v_pk_fma_f32 v[20:21], v[8:9], v[22:23], v[24:25] op_sel_hi:[1,0,1] neg_lo:[1,0,0] neg_hi:[1,0,0]
	s_nop 0
	v_pk_fma_f32 v[20:21], v[12:13], v[22:23], v[20:21] op_sel:[0,1,0]
	global_store_dwordx2 v[14:15], v[20:21], off
	s_branch .LBB31_45
.LBB31_66:
	s_or_b64 exec, exec, s[4:5]
	v_cmp_lt_i32_e32 vcc, -1, v6
	s_and_saveexec_b64 s[8:9], vcc
	s_cbranch_execz .LBB31_88
; %bb.67:
	v_mov_b32_e32 v7, 0
	v_lshl_add_u64 v[8:9], v[6:7], 3, s[12:13]
	global_load_dwordx2 v[0:1], v[8:9], off
	s_waitcnt vmcnt(0)
	v_cmp_gt_f32_e32 vcc, 0, v0
	s_nop 1
	v_cndmask_b32_e64 v6, v0, -v0, vcc
	v_cmp_gt_f32_e32 vcc, 0, v1
	s_nop 1
	v_cndmask_b32_e64 v10, v1, -v1, vcc
	v_cmp_ngt_f32_e32 vcc, v6, v10
	s_and_saveexec_b64 s[2:3], vcc
	s_xor_b64 s[4:5], exec, s[2:3]
	s_cbranch_execz .LBB31_71
; %bb.68:
	v_cmp_neq_f32_e32 vcc, 0, v1
	s_and_saveexec_b64 s[10:11], vcc
	s_cbranch_execz .LBB31_70
; %bb.69:
	v_div_scale_f32 v7, s[2:3], v10, v10, v6
	v_rcp_f32_e32 v11, v7
	v_div_scale_f32 v12, vcc, v6, v10, v6
	s_mov_b32 s2, 0xf800000
	v_fma_f32 v13, -v7, v11, 1.0
	v_fmac_f32_e32 v11, v13, v11
	v_mul_f32_e32 v13, v12, v11
	v_fma_f32 v14, -v7, v13, v12
	v_fmac_f32_e32 v13, v14, v11
	v_fma_f32 v7, -v7, v13, v12
	v_div_fmas_f32 v7, v7, v11, v13
	v_div_fixup_f32 v6, v7, v10, v6
	v_fma_f32 v6, v6, v6, 1.0
	v_mul_f32_e32 v7, 0x4f800000, v6
	v_cmp_gt_f32_e32 vcc, s2, v6
	s_nop 1
	v_cndmask_b32_e32 v6, v6, v7, vcc
	v_sqrt_f32_e32 v7, v6
	s_nop 0
	v_add_u32_e32 v11, -1, v7
	v_fma_f32 v12, -v11, v7, v6
	v_cmp_ge_f32_e64 s[2:3], 0, v12
	v_add_u32_e32 v12, 1, v7
	s_nop 0
	v_cndmask_b32_e64 v11, v7, v11, s[2:3]
	v_fma_f32 v7, -v12, v7, v6
	v_cmp_lt_f32_e64 s[2:3], 0, v7
	s_nop 1
	v_cndmask_b32_e64 v7, v11, v12, s[2:3]
	v_mul_f32_e32 v11, 0x37800000, v7
	v_cndmask_b32_e32 v7, v7, v11, vcc
	v_mov_b32_e32 v11, 0x260
	v_cmp_class_f32_e32 vcc, v6, v11
	s_nop 1
	v_cndmask_b32_e32 v6, v7, v6, vcc
	v_mul_f32_e32 v7, v10, v6
.LBB31_70:
	s_or_b64 exec, exec, s[10:11]
                                        ; implicit-def: $vgpr6
                                        ; implicit-def: $vgpr10
.LBB31_71:
	s_andn2_saveexec_b64 s[4:5], s[4:5]
	s_cbranch_execz .LBB31_73
; %bb.72:
	v_div_scale_f32 v7, s[2:3], v6, v6, v10
	v_rcp_f32_e32 v11, v7
	v_div_scale_f32 v12, vcc, v10, v6, v10
	s_mov_b32 s2, 0xf800000
	v_fma_f32 v13, -v7, v11, 1.0
	v_fmac_f32_e32 v11, v13, v11
	v_mul_f32_e32 v13, v12, v11
	v_fma_f32 v14, -v7, v13, v12
	v_fmac_f32_e32 v13, v14, v11
	v_fma_f32 v7, -v7, v13, v12
	v_div_fmas_f32 v7, v7, v11, v13
	v_div_fixup_f32 v7, v7, v6, v10
	v_fma_f32 v7, v7, v7, 1.0
	v_mul_f32_e32 v10, 0x4f800000, v7
	v_cmp_gt_f32_e32 vcc, s2, v7
	s_nop 1
	v_cndmask_b32_e32 v7, v7, v10, vcc
	v_sqrt_f32_e32 v10, v7
	s_nop 0
	v_add_u32_e32 v11, -1, v10
	v_fma_f32 v12, -v11, v10, v7
	v_cmp_ge_f32_e64 s[2:3], 0, v12
	v_add_u32_e32 v12, 1, v10
	s_nop 0
	v_cndmask_b32_e64 v11, v10, v11, s[2:3]
	v_fma_f32 v10, -v12, v10, v7
	v_cmp_lt_f32_e64 s[2:3], 0, v10
	s_nop 1
	v_cndmask_b32_e64 v10, v11, v12, s[2:3]
	v_mul_f32_e32 v11, 0x37800000, v10
	v_cndmask_b32_e32 v10, v10, v11, vcc
	v_mov_b32_e32 v11, 0x260
	v_cmp_class_f32_e32 vcc, v7, v11
	s_nop 1
	v_cndmask_b32_e32 v7, v10, v7, vcc
	v_mul_f32_e32 v7, v6, v7
.LBB31_73:
	s_or_b64 exec, exec, s[4:5]
	v_cvt_f64_f32_e32 v[6:7], v7
	v_cmp_eq_u32_e64 s[4:5], 0, v16
	s_and_b64 vcc, exec, s[6:7]
	s_mov_b64 s[2:3], -1
	s_cbranch_vccnz .LBB31_77
; %bb.74:
	s_cmp_eq_u64 s[24:25], 8
	v_cvt_f64_f32_e32 v[10:11], v17
	s_cselect_b64 vcc, -1, 0
	v_cndmask_b32_e32 v5, v11, v5, vcc
	v_cndmask_b32_e32 v4, v10, v4, vcc
	v_cmp_ge_f64_e32 vcc, v[4:5], v[6:7]
	s_and_b64 s[6:7], s[4:5], vcc
	s_and_saveexec_b64 s[2:3], s[6:7]
	s_cbranch_execz .LBB31_76
; %bb.75:
	v_mov_b32_e32 v4, s33
	v_mov_b32_e32 v5, s35
	global_store_dwordx2 v[8:9], v[4:5], off
	buffer_wbl2 sc1
	s_waitcnt vmcnt(0)
	buffer_inv sc1
.LBB31_76:
	s_or_b64 exec, exec, s[2:3]
	s_mov_b64 s[2:3], 0
.LBB31_77:
	s_andn2_b64 vcc, exec, s[2:3]
	s_cbranch_vccnz .LBB31_88
; %bb.78:
	s_load_dwordx2 s[0:1], s[0:1], 0x48
	v_add_u32_e32 v4, s34, v2
	s_waitcnt lgkmcnt(0)
	v_cmp_ge_f64_e32 vcc, s[0:1], v[6:7]
	s_and_b64 s[2:3], s[4:5], vcc
	s_and_saveexec_b64 s[0:1], s[2:3]
	s_cbranch_execz .LBB31_83
; %bb.79:
	s_mov_b64 s[2:3], exec
	s_brev_b32 s6, -2
.LBB31_80:                              ; =>This Inner Loop Header: Depth=1
	s_ff1_i32_b64 s7, s[2:3]
	v_readlane_b32 s12, v4, s7
	s_lshl_b64 s[10:11], 1, s7
	s_min_i32 s6, s6, s12
	s_andn2_b64 s[2:3], s[2:3], s[10:11]
	s_cmp_lg_u64 s[2:3], 0
	s_cbranch_scc1 .LBB31_80
; %bb.81:
	v_mbcnt_lo_u32_b32 v5, exec_lo, 0
	v_mbcnt_hi_u32_b32 v5, exec_hi, v5
	v_cmp_eq_u32_e32 vcc, 0, v5
	s_and_saveexec_b64 s[2:3], vcc
	s_xor_b64 s[2:3], exec, s[2:3]
	s_cbranch_execz .LBB31_83
; %bb.82:
	v_mov_b32_e32 v5, 0
	v_mov_b32_e32 v6, s6
	global_atomic_smin v5, v6, s[22:23]
.LBB31_83:
	s_or_b64 exec, exec, s[0:1]
	v_cmp_eq_f32_e32 vcc, 0, v0
	v_cmp_eq_f32_e64 s[0:1], 0, v1
	s_and_b64 s[0:1], vcc, s[0:1]
	s_and_b64 s[0:1], s[4:5], s[0:1]
	s_and_b64 exec, exec, s[0:1]
	s_cbranch_execz .LBB31_88
; %bb.84:
	s_mov_b64 s[0:1], exec
	s_brev_b32 s2, -2
.LBB31_85:                              ; =>This Inner Loop Header: Depth=1
	s_ff1_i32_b64 s3, s[0:1]
	v_readlane_b32 s6, v4, s3
	s_lshl_b64 s[4:5], 1, s3
	s_min_i32 s2, s2, s6
	s_andn2_b64 s[0:1], s[0:1], s[4:5]
	s_cmp_lg_u64 s[0:1], 0
	s_cbranch_scc1 .LBB31_85
; %bb.86:
	v_mbcnt_lo_u32_b32 v0, exec_lo, 0
	v_mbcnt_hi_u32_b32 v0, exec_hi, v0
	v_cmp_eq_u32_e32 vcc, 0, v0
	s_and_saveexec_b64 s[0:1], vcc
	s_xor_b64 s[0:1], exec, s[0:1]
	s_cbranch_execz .LBB31_88
; %bb.87:
	v_mov_b32_e32 v0, 0
	v_mov_b32_e32 v1, s2
	global_atomic_smin v0, v1, s[20:21]
.LBB31_88:
	s_or_b64 exec, exec, s[8:9]
	v_cmp_eq_u32_e32 vcc, 0, v16
	buffer_wbl2 sc1
	s_waitcnt vmcnt(0)
	buffer_inv sc1
	s_and_b64 exec, exec, vcc
	s_cbranch_execz .LBB31_90
; %bb.89:
	v_lshl_add_u64 v[0:1], v[2:3], 2, s[16:17]
	v_mov_b32_e32 v2, 1
	buffer_wbl2 sc1
	global_store_dword v[0:1], v2, off sc1
.LBB31_90:
	s_endpgm
	.section	.rodata,"a",@progbits
	.p2align	6, 0x0
	.amdhsa_kernel _ZN9rocsparseL12csrilu0_hashILj256ELj32ELj16E21rocsparse_complex_numIfEEEviPKiS4_PT2_S4_PiS4_S7_S7_d21rocsparse_index_base_imNS_24const_host_device_scalarIfEENS9_IdEENS9_IS5_EEb
		.amdhsa_group_segment_fixed_size 32768
		.amdhsa_private_segment_fixed_size 0
		.amdhsa_kernarg_size 124
		.amdhsa_user_sgpr_count 2
		.amdhsa_user_sgpr_dispatch_ptr 0
		.amdhsa_user_sgpr_queue_ptr 0
		.amdhsa_user_sgpr_kernarg_segment_ptr 1
		.amdhsa_user_sgpr_dispatch_id 0
		.amdhsa_user_sgpr_kernarg_preload_length 0
		.amdhsa_user_sgpr_kernarg_preload_offset 0
		.amdhsa_user_sgpr_private_segment_size 0
		.amdhsa_uses_dynamic_stack 0
		.amdhsa_enable_private_segment 0
		.amdhsa_system_sgpr_workgroup_id_x 1
		.amdhsa_system_sgpr_workgroup_id_y 0
		.amdhsa_system_sgpr_workgroup_id_z 0
		.amdhsa_system_sgpr_workgroup_info 0
		.amdhsa_system_vgpr_workitem_id 0
		.amdhsa_next_free_vgpr 81
		.amdhsa_next_free_sgpr 96
		.amdhsa_accum_offset 28
		.amdhsa_reserve_vcc 1
		.amdhsa_float_round_mode_32 0
		.amdhsa_float_round_mode_16_64 0
		.amdhsa_float_denorm_mode_32 3
		.amdhsa_float_denorm_mode_16_64 3
		.amdhsa_dx10_clamp 1
		.amdhsa_ieee_mode 1
		.amdhsa_fp16_overflow 0
		.amdhsa_tg_split 0
		.amdhsa_exception_fp_ieee_invalid_op 0
		.amdhsa_exception_fp_denorm_src 0
		.amdhsa_exception_fp_ieee_div_zero 0
		.amdhsa_exception_fp_ieee_overflow 0
		.amdhsa_exception_fp_ieee_underflow 0
		.amdhsa_exception_fp_ieee_inexact 0
		.amdhsa_exception_int_div_zero 0
	.end_amdhsa_kernel
	.section	.text._ZN9rocsparseL12csrilu0_hashILj256ELj32ELj16E21rocsparse_complex_numIfEEEviPKiS4_PT2_S4_PiS4_S7_S7_d21rocsparse_index_base_imNS_24const_host_device_scalarIfEENS9_IdEENS9_IS5_EEb,"axG",@progbits,_ZN9rocsparseL12csrilu0_hashILj256ELj32ELj16E21rocsparse_complex_numIfEEEviPKiS4_PT2_S4_PiS4_S7_S7_d21rocsparse_index_base_imNS_24const_host_device_scalarIfEENS9_IdEENS9_IS5_EEb,comdat
.Lfunc_end31:
	.size	_ZN9rocsparseL12csrilu0_hashILj256ELj32ELj16E21rocsparse_complex_numIfEEEviPKiS4_PT2_S4_PiS4_S7_S7_d21rocsparse_index_base_imNS_24const_host_device_scalarIfEENS9_IdEENS9_IS5_EEb, .Lfunc_end31-_ZN9rocsparseL12csrilu0_hashILj256ELj32ELj16E21rocsparse_complex_numIfEEEviPKiS4_PT2_S4_PiS4_S7_S7_d21rocsparse_index_base_imNS_24const_host_device_scalarIfEENS9_IdEENS9_IS5_EEb
                                        ; -- End function
	.set _ZN9rocsparseL12csrilu0_hashILj256ELj32ELj16E21rocsparse_complex_numIfEEEviPKiS4_PT2_S4_PiS4_S7_S7_d21rocsparse_index_base_imNS_24const_host_device_scalarIfEENS9_IdEENS9_IS5_EEb.num_vgpr, 26
	.set _ZN9rocsparseL12csrilu0_hashILj256ELj32ELj16E21rocsparse_complex_numIfEEEviPKiS4_PT2_S4_PiS4_S7_S7_d21rocsparse_index_base_imNS_24const_host_device_scalarIfEENS9_IdEENS9_IS5_EEb.num_agpr, 0
	.set _ZN9rocsparseL12csrilu0_hashILj256ELj32ELj16E21rocsparse_complex_numIfEEEviPKiS4_PT2_S4_PiS4_S7_S7_d21rocsparse_index_base_imNS_24const_host_device_scalarIfEENS9_IdEENS9_IS5_EEb.numbered_sgpr, 63
	.set _ZN9rocsparseL12csrilu0_hashILj256ELj32ELj16E21rocsparse_complex_numIfEEEviPKiS4_PT2_S4_PiS4_S7_S7_d21rocsparse_index_base_imNS_24const_host_device_scalarIfEENS9_IdEENS9_IS5_EEb.num_named_barrier, 0
	.set _ZN9rocsparseL12csrilu0_hashILj256ELj32ELj16E21rocsparse_complex_numIfEEEviPKiS4_PT2_S4_PiS4_S7_S7_d21rocsparse_index_base_imNS_24const_host_device_scalarIfEENS9_IdEENS9_IS5_EEb.private_seg_size, 0
	.set _ZN9rocsparseL12csrilu0_hashILj256ELj32ELj16E21rocsparse_complex_numIfEEEviPKiS4_PT2_S4_PiS4_S7_S7_d21rocsparse_index_base_imNS_24const_host_device_scalarIfEENS9_IdEENS9_IS5_EEb.uses_vcc, 1
	.set _ZN9rocsparseL12csrilu0_hashILj256ELj32ELj16E21rocsparse_complex_numIfEEEviPKiS4_PT2_S4_PiS4_S7_S7_d21rocsparse_index_base_imNS_24const_host_device_scalarIfEENS9_IdEENS9_IS5_EEb.uses_flat_scratch, 0
	.set _ZN9rocsparseL12csrilu0_hashILj256ELj32ELj16E21rocsparse_complex_numIfEEEviPKiS4_PT2_S4_PiS4_S7_S7_d21rocsparse_index_base_imNS_24const_host_device_scalarIfEENS9_IdEENS9_IS5_EEb.has_dyn_sized_stack, 0
	.set _ZN9rocsparseL12csrilu0_hashILj256ELj32ELj16E21rocsparse_complex_numIfEEEviPKiS4_PT2_S4_PiS4_S7_S7_d21rocsparse_index_base_imNS_24const_host_device_scalarIfEENS9_IdEENS9_IS5_EEb.has_recursion, 0
	.set _ZN9rocsparseL12csrilu0_hashILj256ELj32ELj16E21rocsparse_complex_numIfEEEviPKiS4_PT2_S4_PiS4_S7_S7_d21rocsparse_index_base_imNS_24const_host_device_scalarIfEENS9_IdEENS9_IS5_EEb.has_indirect_call, 0
	.section	.AMDGPU.csdata,"",@progbits
; Kernel info:
; codeLenInByte = 3144
; TotalNumSgprs: 69
; NumVgprs: 26
; NumAgprs: 0
; TotalNumVgprs: 26
; ScratchSize: 0
; MemoryBound: 0
; FloatMode: 240
; IeeeMode: 1
; LDSByteSize: 32768 bytes/workgroup (compile time only)
; SGPRBlocks: 12
; VGPRBlocks: 10
; NumSGPRsForWavesPerEU: 102
; NumVGPRsForWavesPerEU: 81
; AccumOffset: 28
; Occupancy: 5
; WaveLimiterHint : 1
; COMPUTE_PGM_RSRC2:SCRATCH_EN: 0
; COMPUTE_PGM_RSRC2:USER_SGPR: 2
; COMPUTE_PGM_RSRC2:TRAP_HANDLER: 0
; COMPUTE_PGM_RSRC2:TGID_X_EN: 1
; COMPUTE_PGM_RSRC2:TGID_Y_EN: 0
; COMPUTE_PGM_RSRC2:TGID_Z_EN: 0
; COMPUTE_PGM_RSRC2:TIDIG_COMP_CNT: 0
; COMPUTE_PGM_RSRC3_GFX90A:ACCUM_OFFSET: 6
; COMPUTE_PGM_RSRC3_GFX90A:TG_SPLIT: 0
	.section	.text._ZN9rocsparseL17csrilu0_binsearchILj256ELj32ELb0E21rocsparse_complex_numIfEEEviPKiS4_PT2_S4_PiS4_S7_S7_d21rocsparse_index_base_imNS_24const_host_device_scalarIfEENS9_IdEENS9_IS5_EEb,"axG",@progbits,_ZN9rocsparseL17csrilu0_binsearchILj256ELj32ELb0E21rocsparse_complex_numIfEEEviPKiS4_PT2_S4_PiS4_S7_S7_d21rocsparse_index_base_imNS_24const_host_device_scalarIfEENS9_IdEENS9_IS5_EEb,comdat
	.globl	_ZN9rocsparseL17csrilu0_binsearchILj256ELj32ELb0E21rocsparse_complex_numIfEEEviPKiS4_PT2_S4_PiS4_S7_S7_d21rocsparse_index_base_imNS_24const_host_device_scalarIfEENS9_IdEENS9_IS5_EEb ; -- Begin function _ZN9rocsparseL17csrilu0_binsearchILj256ELj32ELb0E21rocsparse_complex_numIfEEEviPKiS4_PT2_S4_PiS4_S7_S7_d21rocsparse_index_base_imNS_24const_host_device_scalarIfEENS9_IdEENS9_IS5_EEb
	.p2align	8
	.type	_ZN9rocsparseL17csrilu0_binsearchILj256ELj32ELb0E21rocsparse_complex_numIfEEEviPKiS4_PT2_S4_PiS4_S7_S7_d21rocsparse_index_base_imNS_24const_host_device_scalarIfEENS9_IdEENS9_IS5_EEb,@function
_ZN9rocsparseL17csrilu0_binsearchILj256ELj32ELb0E21rocsparse_complex_numIfEEEviPKiS4_PT2_S4_PiS4_S7_S7_d21rocsparse_index_base_imNS_24const_host_device_scalarIfEENS9_IdEENS9_IS5_EEb: ; @_ZN9rocsparseL17csrilu0_binsearchILj256ELj32ELb0E21rocsparse_complex_numIfEEEviPKiS4_PT2_S4_PiS4_S7_S7_d21rocsparse_index_base_imNS_24const_host_device_scalarIfEENS9_IdEENS9_IS5_EEb
; %bb.0:
	s_load_dword s3, s[0:1], 0x78
	s_load_dwordx2 s[34:35], s[0:1], 0x50
	s_load_dwordx8 s[24:31], s[0:1], 0x58
	s_waitcnt lgkmcnt(0)
	s_bitcmp1_b32 s3, 0
	s_cselect_b64 s[4:5], -1, 0
	s_cmp_eq_u32 s35, 0
	s_cselect_b64 s[12:13], -1, 0
	s_cmp_lg_u32 s35, 0
	s_cselect_b64 s[8:9], -1, 0
	s_or_b64 s[14:15], s[12:13], s[4:5]
	s_xor_b64 s[6:7], s[14:15], -1
	s_and_b64 s[10:11], s[12:13], exec
	s_cselect_b32 s11, 0, s29
	s_cselect_b32 s10, 0, s28
	s_and_b64 vcc, exec, s[14:15]
	s_cbranch_vccnz .LBB32_2
; %bb.1:
	s_load_dword s3, s[26:27], 0x0
	s_mov_b64 s[10:11], s[28:29]
	s_waitcnt lgkmcnt(0)
	v_mov_b32_e32 v19, s3
	s_andn2_b64 vcc, exec, s[6:7]
	v_mov_b64_e32 v[4:5], s[10:11]
	s_cbranch_vccz .LBB32_3
	s_branch .LBB32_4
.LBB32_2:
	v_mov_b32_e32 v1, s26
	v_cndmask_b32_e64 v19, v1, 0, s[12:13]
	s_andn2_b64 vcc, exec, s[6:7]
	v_mov_b64_e32 v[4:5], s[10:11]
	s_cbranch_vccnz .LBB32_4
.LBB32_3:
	v_mov_b64_e32 v[2:3], s[28:29]
	flat_load_dwordx2 v[4:5], v[2:3]
.LBB32_4:
	v_cndmask_b32_e64 v1, 0, 1, s[8:9]
	s_mov_b32 s33, 0
	v_cmp_ne_u32_e64 s[6:7], 1, v1
	s_andn2_b64 vcc, exec, s[8:9]
	s_mov_b32 s35, 0
	s_cbranch_vccnz .LBB32_10
; %bb.5:
	s_xor_b64 s[8:9], s[4:5], -1
	v_cndmask_b32_e64 v1, 0, 1, s[8:9]
	v_cmp_ne_u32_e64 s[4:5], 1, v1
	s_andn2_b64 vcc, exec, s[8:9]
	s_mov_b32 s33, s30
	s_cbranch_vccnz .LBB32_7
; %bb.6:
	s_load_dword s33, s[30:31], 0x0
.LBB32_7:
	s_and_b64 vcc, exec, s[4:5]
	s_cbranch_vccnz .LBB32_9
; %bb.8:
	s_load_dword s31, s[30:31], 0x4
.LBB32_9:
	s_waitcnt lgkmcnt(0)
	s_mov_b32 s35, s31
.LBB32_10:
	s_load_dword s3, s[0:1], 0x0
	s_lshl_b32 s2, s2, 3
	v_lshrrev_b32_e32 v1, 5, v0
	s_and_b32 s2, s2, 0x7fffff8
	v_or_b32_e32 v1, s2, v1
	s_waitcnt lgkmcnt(0)
	v_cmp_gt_i32_e32 vcc, s3, v1
	s_and_saveexec_b64 s[2:3], vcc
	s_cbranch_execz .LBB32_52
; %bb.11:
	s_load_dwordx16 s[8:23], s[0:1], 0x8
	v_lshlrev_b32_e32 v1, 2, v1
	v_and_b32_e32 v18, 31, v0
	s_waitcnt lgkmcnt(0)
	global_load_dword v2, v1, s[18:19]
	s_waitcnt vmcnt(0)
	v_ashrrev_i32_e32 v3, 31, v2
	v_lshlrev_b64 v[6:7], 2, v[2:3]
	v_lshl_add_u64 v[8:9], s[8:9], 0, v[6:7]
	v_lshl_add_u64 v[10:11], s[14:15], 0, v[6:7]
	global_load_dword v1, v[8:9], off
	global_load_dword v6, v[10:11], off
	s_waitcnt vmcnt(1)
	v_subrev_u32_e32 v0, s34, v1
	s_waitcnt vmcnt(0)
	v_cmp_lt_i32_e32 vcc, v0, v6
	s_and_saveexec_b64 s[4:5], vcc
	s_cbranch_execz .LBB32_28
; %bb.12:
	global_load_dword v1, v[8:9], off offset:4
	v_add_u32_e32 v7, 1, v18
	s_mov_b64 s[18:19], 0
	s_waitcnt vmcnt(0)
	v_xad_u32 v20, s34, -1, v1
	s_branch .LBB32_15
.LBB32_13:                              ;   in Loop: Header=BB32_15 Depth=1
	s_or_b64 exec, exec, s[26:27]
	v_cmp_ge_i32_e32 vcc, v0, v6
	s_orn2_b64 s[26:27], vcc, exec
.LBB32_14:                              ;   in Loop: Header=BB32_15 Depth=1
	s_or_b64 exec, exec, s[2:3]
	s_and_b64 s[2:3], exec, s[26:27]
	s_or_b64 s[18:19], s[2:3], s[18:19]
	s_andn2_b64 exec, exec, s[18:19]
	s_cbranch_execz .LBB32_28
.LBB32_15:                              ; =>This Loop Header: Depth=1
                                        ;     Child Loop BB32_17 Depth 2
                                        ;     Child Loop BB32_22 Depth 2
                                        ;       Child Loop BB32_24 Depth 3
	v_ashrrev_i32_e32 v1, 31, v0
	v_lshl_add_u64 v[8:9], v[0:1], 2, s[10:11]
	global_load_dword v12, v[8:9], off
	v_lshl_add_u64 v[10:11], v[0:1], 3, s[12:13]
	global_load_dwordx2 v[8:9], v[10:11], off
	s_waitcnt vmcnt(1)
	v_subrev_u32_e32 v12, s34, v12
	v_ashrrev_i32_e32 v13, 31, v12
	v_lshlrev_b64 v[12:13], 2, v[12:13]
	v_lshl_add_u64 v[16:17], s[8:9], 0, v[12:13]
	v_lshl_add_u64 v[22:23], s[14:15], 0, v[12:13]
	v_lshl_add_u64 v[12:13], s[16:17], 0, v[12:13]
	global_load_dword v1, v[16:17], off offset:4
	global_load_dword v14, v[22:23], off
	global_load_dword v15, v[12:13], off sc1
	s_waitcnt vmcnt(0)
	v_cmp_eq_u32_e32 vcc, 0, v15
	s_and_saveexec_b64 s[2:3], vcc
	s_cbranch_execz .LBB32_18
; %bb.16:                               ;   in Loop: Header=BB32_15 Depth=1
	s_mov_b64 s[26:27], 0
.LBB32_17:                              ;   Parent Loop BB32_15 Depth=1
                                        ; =>  This Inner Loop Header: Depth=2
	global_load_dword v15, v[12:13], off sc1
	s_waitcnt vmcnt(0)
	v_cmp_ne_u32_e32 vcc, 0, v15
	s_or_b64 s[26:27], vcc, s[26:27]
	s_andn2_b64 exec, exec, s[26:27]
	s_cbranch_execnz .LBB32_17
.LBB32_18:                              ;   in Loop: Header=BB32_15 Depth=1
	s_or_b64 exec, exec, s[2:3]
	v_subrev_u32_e32 v1, s34, v1
	v_add_u32_e32 v12, -1, v1
	v_cmp_eq_u32_e32 vcc, -1, v14
	buffer_inv sc1
	s_mov_b64 s[26:27], -1
	v_cndmask_b32_e32 v12, v14, v12, vcc
	v_ashrrev_i32_e32 v13, 31, v12
	v_lshl_add_u64 v[14:15], v[12:13], 3, s[12:13]
	global_load_dwordx2 v[14:15], v[14:15], off
	s_waitcnt vmcnt(0)
	v_cmp_neq_f32_e32 vcc, 0, v14
	v_cmp_neq_f32_e64 s[2:3], 0, v15
	s_or_b64 s[2:3], vcc, s[2:3]
	s_and_saveexec_b64 s[28:29], s[2:3]
	s_xor_b64 s[2:3], exec, s[28:29]
	s_cbranch_execz .LBB32_14
; %bb.19:                               ;   in Loop: Header=BB32_15 Depth=1
	v_mul_f32_e32 v13, v15, v15
	v_fmac_f32_e32 v13, v14, v14
	v_div_scale_f32 v16, s[26:27], v13, v13, 1.0
	v_rcp_f32_e32 v17, v16
	v_div_scale_f32 v21, vcc, 1.0, v13, 1.0
	v_mov_b32_e32 v24, v15
	v_fma_f32 v22, -v16, v17, 1.0
	v_fmac_f32_e32 v17, v22, v17
	v_mul_f32_e32 v22, v21, v17
	v_fma_f32 v23, -v16, v22, v21
	v_fmac_f32_e32 v22, v23, v17
	v_fma_f32 v16, -v16, v22, v21
	v_div_fmas_f32 v16, v16, v17, v22
	v_xor_b32_e32 v23, 0x80000000, v8
	v_mov_b32_e32 v22, v9
	v_pk_mul_f32 v[22:23], v[22:23], v[24:25] op_sel_hi:[1,0]
	v_div_fixup_f32 v16, v16, v13, 1.0
	v_pk_fma_f32 v[8:9], v[8:9], v[14:15], v[22:23] op_sel_hi:[1,0,1]
	v_add_u32_e32 v0, 1, v0
	v_pk_mul_f32 v[8:9], v[8:9], v[16:17] op_sel_hi:[1,0]
	global_store_dwordx2 v[10:11], v[8:9], off
	v_add_u32_e32 v10, v7, v12
	v_cmp_lt_i32_e32 vcc, v10, v1
	s_and_saveexec_b64 s[26:27], vcc
	s_cbranch_execz .LBB32_13
; %bb.20:                               ;   in Loop: Header=BB32_15 Depth=1
	v_pk_add_f32 v[12:13], v[8:9], 0 neg_lo:[1,1] neg_hi:[1,1]
	s_mov_b64 s[28:29], 0
	v_pk_mov_b32 v[12:13], v[8:9], v[12:13] op_sel:[1,0]
	v_mov_b32_e32 v14, v0
	s_branch .LBB32_22
.LBB32_21:                              ;   in Loop: Header=BB32_22 Depth=2
	s_or_b64 exec, exec, s[30:31]
	v_add_u32_e32 v10, 32, v10
	v_cmp_ge_i32_e32 vcc, v10, v1
	s_or_b64 s[28:29], vcc, s[28:29]
	s_andn2_b64 exec, exec, s[28:29]
	s_cbranch_execz .LBB32_13
.LBB32_22:                              ;   Parent Loop BB32_15 Depth=1
                                        ; =>  This Loop Header: Depth=2
                                        ;       Child Loop BB32_24 Depth 3
	v_add_u32_e32 v15, v14, v20
	v_ashrrev_i32_e32 v11, 31, v10
	v_ashrrev_i32_e32 v16, 1, v15
	v_lshl_add_u64 v[22:23], v[10:11], 2, s[10:11]
	v_ashrrev_i32_e32 v17, 31, v16
	v_lshl_add_u64 v[24:25], v[16:17], 2, s[10:11]
	global_load_dword v15, v[22:23], off
	global_load_dword v17, v[24:25], off
	v_cmp_lt_i32_e32 vcc, v14, v20
	s_and_saveexec_b64 s[30:31], vcc
	s_cbranch_execz .LBB32_26
; %bb.23:                               ;   in Loop: Header=BB32_22 Depth=2
	s_mov_b64 s[36:37], 0
	v_mov_b32_e32 v21, v20
.LBB32_24:                              ;   Parent Loop BB32_15 Depth=1
                                        ;     Parent Loop BB32_22 Depth=2
                                        ; =>    This Inner Loop Header: Depth=3
	v_add_u32_e32 v22, 1, v16
	s_waitcnt vmcnt(0)
	v_cmp_lt_i32_e32 vcc, v17, v15
	s_nop 1
	v_cndmask_b32_e32 v21, v16, v21, vcc
	v_cndmask_b32_e32 v14, v14, v22, vcc
	v_add_u32_e32 v16, v21, v14
	v_ashrrev_i32_e32 v16, 1, v16
	v_ashrrev_i32_e32 v17, 31, v16
	v_lshl_add_u64 v[22:23], v[16:17], 2, s[10:11]
	global_load_dword v17, v[22:23], off
	v_cmp_ge_i32_e32 vcc, v14, v21
	s_or_b64 s[36:37], vcc, s[36:37]
	s_andn2_b64 exec, exec, s[36:37]
	s_cbranch_execnz .LBB32_24
; %bb.25:                               ;   in Loop: Header=BB32_22 Depth=2
	s_or_b64 exec, exec, s[36:37]
.LBB32_26:                              ;   in Loop: Header=BB32_22 Depth=2
	s_or_b64 exec, exec, s[30:31]
	s_waitcnt vmcnt(0)
	v_cmp_eq_u32_e32 vcc, v17, v15
	s_and_saveexec_b64 s[30:31], vcc
	s_cbranch_execz .LBB32_21
; %bb.27:                               ;   in Loop: Header=BB32_22 Depth=2
	v_lshl_add_u64 v[16:17], v[10:11], 3, s[12:13]
	v_ashrrev_i32_e32 v15, 31, v14
	v_lshl_add_u64 v[22:23], v[14:15], 3, s[12:13]
	global_load_dwordx2 v[24:25], v[16:17], off
	global_load_dwordx2 v[26:27], v[22:23], off
	s_waitcnt vmcnt(0)
	v_pk_fma_f32 v[16:17], v[8:9], v[24:25], v[26:27] op_sel_hi:[1,0,1] neg_lo:[1,0,0] neg_hi:[1,0,0]
	s_nop 0
	v_pk_fma_f32 v[16:17], v[12:13], v[24:25], v[16:17] op_sel:[0,1,0]
	global_store_dwordx2 v[22:23], v[16:17], off
	s_branch .LBB32_21
.LBB32_28:
	s_or_b64 exec, exec, s[4:5]
	v_cmp_lt_i32_e32 vcc, -1, v6
	s_and_saveexec_b64 s[8:9], vcc
	s_cbranch_execz .LBB32_50
; %bb.29:
	v_mov_b32_e32 v7, 0
	v_lshl_add_u64 v[8:9], v[6:7], 3, s[12:13]
	global_load_dwordx2 v[0:1], v[8:9], off
	s_waitcnt vmcnt(0)
	v_cmp_gt_f32_e32 vcc, 0, v0
	s_nop 1
	v_cndmask_b32_e64 v6, v0, -v0, vcc
	v_cmp_gt_f32_e32 vcc, 0, v1
	s_nop 1
	v_cndmask_b32_e64 v10, v1, -v1, vcc
	v_cmp_ngt_f32_e32 vcc, v6, v10
	s_and_saveexec_b64 s[2:3], vcc
	s_xor_b64 s[4:5], exec, s[2:3]
	s_cbranch_execz .LBB32_33
; %bb.30:
	v_cmp_neq_f32_e32 vcc, 0, v1
	s_and_saveexec_b64 s[10:11], vcc
	s_cbranch_execz .LBB32_32
; %bb.31:
	v_div_scale_f32 v7, s[2:3], v10, v10, v6
	v_rcp_f32_e32 v11, v7
	v_div_scale_f32 v12, vcc, v6, v10, v6
	s_mov_b32 s2, 0xf800000
	v_fma_f32 v13, -v7, v11, 1.0
	v_fmac_f32_e32 v11, v13, v11
	v_mul_f32_e32 v13, v12, v11
	v_fma_f32 v14, -v7, v13, v12
	v_fmac_f32_e32 v13, v14, v11
	v_fma_f32 v7, -v7, v13, v12
	v_div_fmas_f32 v7, v7, v11, v13
	v_div_fixup_f32 v6, v7, v10, v6
	v_fma_f32 v6, v6, v6, 1.0
	v_mul_f32_e32 v7, 0x4f800000, v6
	v_cmp_gt_f32_e32 vcc, s2, v6
	s_nop 1
	v_cndmask_b32_e32 v6, v6, v7, vcc
	v_sqrt_f32_e32 v7, v6
	s_nop 0
	v_add_u32_e32 v11, -1, v7
	v_fma_f32 v12, -v11, v7, v6
	v_cmp_ge_f32_e64 s[2:3], 0, v12
	v_add_u32_e32 v12, 1, v7
	s_nop 0
	v_cndmask_b32_e64 v11, v7, v11, s[2:3]
	v_fma_f32 v7, -v12, v7, v6
	v_cmp_lt_f32_e64 s[2:3], 0, v7
	s_nop 1
	v_cndmask_b32_e64 v7, v11, v12, s[2:3]
	v_mul_f32_e32 v11, 0x37800000, v7
	v_cndmask_b32_e32 v7, v7, v11, vcc
	v_mov_b32_e32 v11, 0x260
	v_cmp_class_f32_e32 vcc, v6, v11
	s_nop 1
	v_cndmask_b32_e32 v6, v7, v6, vcc
	v_mul_f32_e32 v7, v10, v6
.LBB32_32:
	s_or_b64 exec, exec, s[10:11]
                                        ; implicit-def: $vgpr6
                                        ; implicit-def: $vgpr10
.LBB32_33:
	s_andn2_saveexec_b64 s[4:5], s[4:5]
	s_cbranch_execz .LBB32_35
; %bb.34:
	v_div_scale_f32 v7, s[2:3], v6, v6, v10
	v_rcp_f32_e32 v11, v7
	v_div_scale_f32 v12, vcc, v10, v6, v10
	s_mov_b32 s2, 0xf800000
	v_fma_f32 v13, -v7, v11, 1.0
	v_fmac_f32_e32 v11, v13, v11
	v_mul_f32_e32 v13, v12, v11
	v_fma_f32 v14, -v7, v13, v12
	v_fmac_f32_e32 v13, v14, v11
	v_fma_f32 v7, -v7, v13, v12
	v_div_fmas_f32 v7, v7, v11, v13
	v_div_fixup_f32 v7, v7, v6, v10
	v_fma_f32 v7, v7, v7, 1.0
	v_mul_f32_e32 v10, 0x4f800000, v7
	v_cmp_gt_f32_e32 vcc, s2, v7
	s_nop 1
	v_cndmask_b32_e32 v7, v7, v10, vcc
	v_sqrt_f32_e32 v10, v7
	s_nop 0
	v_add_u32_e32 v11, -1, v10
	v_fma_f32 v12, -v11, v10, v7
	v_cmp_ge_f32_e64 s[2:3], 0, v12
	v_add_u32_e32 v12, 1, v10
	s_nop 0
	v_cndmask_b32_e64 v11, v10, v11, s[2:3]
	v_fma_f32 v10, -v12, v10, v7
	v_cmp_lt_f32_e64 s[2:3], 0, v10
	s_nop 1
	v_cndmask_b32_e64 v10, v11, v12, s[2:3]
	v_mul_f32_e32 v11, 0x37800000, v10
	v_cndmask_b32_e32 v10, v10, v11, vcc
	v_mov_b32_e32 v11, 0x260
	v_cmp_class_f32_e32 vcc, v7, v11
	s_nop 1
	v_cndmask_b32_e32 v7, v10, v7, vcc
	v_mul_f32_e32 v7, v6, v7
.LBB32_35:
	s_or_b64 exec, exec, s[4:5]
	v_cvt_f64_f32_e32 v[6:7], v7
	v_cmp_eq_u32_e64 s[4:5], 0, v18
	s_and_b64 vcc, exec, s[6:7]
	s_mov_b64 s[2:3], -1
	s_cbranch_vccnz .LBB32_39
; %bb.36:
	s_cmp_eq_u64 s[24:25], 8
	v_cvt_f64_f32_e32 v[10:11], v19
	s_cselect_b64 vcc, -1, 0
	v_cndmask_b32_e32 v5, v11, v5, vcc
	v_cndmask_b32_e32 v4, v10, v4, vcc
	v_cmp_ge_f64_e32 vcc, v[4:5], v[6:7]
	s_and_b64 s[6:7], s[4:5], vcc
	s_and_saveexec_b64 s[2:3], s[6:7]
	s_cbranch_execz .LBB32_38
; %bb.37:
	v_mov_b32_e32 v4, s33
	v_mov_b32_e32 v5, s35
	global_store_dwordx2 v[8:9], v[4:5], off
.LBB32_38:
	s_or_b64 exec, exec, s[2:3]
	s_mov_b64 s[2:3], 0
.LBB32_39:
	s_andn2_b64 vcc, exec, s[2:3]
	s_cbranch_vccnz .LBB32_50
; %bb.40:
	s_load_dwordx2 s[0:1], s[0:1], 0x48
	v_add_u32_e32 v4, s34, v2
	s_waitcnt lgkmcnt(0)
	v_cmp_ge_f64_e32 vcc, s[0:1], v[6:7]
	s_and_b64 s[2:3], s[4:5], vcc
	s_and_saveexec_b64 s[0:1], s[2:3]
	s_cbranch_execz .LBB32_45
; %bb.41:
	s_mov_b64 s[2:3], exec
	s_brev_b32 s6, -2
.LBB32_42:                              ; =>This Inner Loop Header: Depth=1
	s_ff1_i32_b64 s7, s[2:3]
	v_readlane_b32 s12, v4, s7
	s_lshl_b64 s[10:11], 1, s7
	s_min_i32 s6, s6, s12
	s_andn2_b64 s[2:3], s[2:3], s[10:11]
	s_cmp_lg_u64 s[2:3], 0
	s_cbranch_scc1 .LBB32_42
; %bb.43:
	v_mbcnt_lo_u32_b32 v5, exec_lo, 0
	v_mbcnt_hi_u32_b32 v5, exec_hi, v5
	v_cmp_eq_u32_e32 vcc, 0, v5
	s_and_saveexec_b64 s[2:3], vcc
	s_xor_b64 s[2:3], exec, s[2:3]
	s_cbranch_execz .LBB32_45
; %bb.44:
	v_mov_b32_e32 v5, 0
	v_mov_b32_e32 v6, s6
	global_atomic_smin v5, v6, s[22:23]
.LBB32_45:
	s_or_b64 exec, exec, s[0:1]
	v_cmp_eq_f32_e32 vcc, 0, v0
	v_cmp_eq_f32_e64 s[0:1], 0, v1
	s_and_b64 s[0:1], vcc, s[0:1]
	s_and_b64 s[0:1], s[4:5], s[0:1]
	s_and_b64 exec, exec, s[0:1]
	s_cbranch_execz .LBB32_50
; %bb.46:
	s_mov_b64 s[0:1], exec
	s_brev_b32 s2, -2
.LBB32_47:                              ; =>This Inner Loop Header: Depth=1
	s_ff1_i32_b64 s3, s[0:1]
	v_readlane_b32 s6, v4, s3
	s_lshl_b64 s[4:5], 1, s3
	s_min_i32 s2, s2, s6
	s_andn2_b64 s[0:1], s[0:1], s[4:5]
	s_cmp_lg_u64 s[0:1], 0
	s_cbranch_scc1 .LBB32_47
; %bb.48:
	v_mbcnt_lo_u32_b32 v0, exec_lo, 0
	v_mbcnt_hi_u32_b32 v0, exec_hi, v0
	v_cmp_eq_u32_e32 vcc, 0, v0
	s_and_saveexec_b64 s[0:1], vcc
	s_xor_b64 s[0:1], exec, s[0:1]
	s_cbranch_execz .LBB32_50
; %bb.49:
	v_mov_b32_e32 v0, 0
	v_mov_b32_e32 v1, s2
	global_atomic_smin v0, v1, s[20:21]
.LBB32_50:
	s_or_b64 exec, exec, s[8:9]
	v_cmp_eq_u32_e32 vcc, 0, v18
	buffer_wbl2 sc1
	s_waitcnt vmcnt(0)
	buffer_inv sc1
	s_and_b64 exec, exec, vcc
	s_cbranch_execz .LBB32_52
; %bb.51:
	v_lshl_add_u64 v[0:1], v[2:3], 2, s[16:17]
	v_mov_b32_e32 v2, 1
	buffer_wbl2 sc1
	global_store_dword v[0:1], v2, off sc1
.LBB32_52:
	s_endpgm
	.section	.rodata,"a",@progbits
	.p2align	6, 0x0
	.amdhsa_kernel _ZN9rocsparseL17csrilu0_binsearchILj256ELj32ELb0E21rocsparse_complex_numIfEEEviPKiS4_PT2_S4_PiS4_S7_S7_d21rocsparse_index_base_imNS_24const_host_device_scalarIfEENS9_IdEENS9_IS5_EEb
		.amdhsa_group_segment_fixed_size 0
		.amdhsa_private_segment_fixed_size 0
		.amdhsa_kernarg_size 124
		.amdhsa_user_sgpr_count 2
		.amdhsa_user_sgpr_dispatch_ptr 0
		.amdhsa_user_sgpr_queue_ptr 0
		.amdhsa_user_sgpr_kernarg_segment_ptr 1
		.amdhsa_user_sgpr_dispatch_id 0
		.amdhsa_user_sgpr_kernarg_preload_length 0
		.amdhsa_user_sgpr_kernarg_preload_offset 0
		.amdhsa_user_sgpr_private_segment_size 0
		.amdhsa_uses_dynamic_stack 0
		.amdhsa_enable_private_segment 0
		.amdhsa_system_sgpr_workgroup_id_x 1
		.amdhsa_system_sgpr_workgroup_id_y 0
		.amdhsa_system_sgpr_workgroup_id_z 0
		.amdhsa_system_sgpr_workgroup_info 0
		.amdhsa_system_vgpr_workitem_id 0
		.amdhsa_next_free_vgpr 28
		.amdhsa_next_free_sgpr 38
		.amdhsa_accum_offset 28
		.amdhsa_reserve_vcc 1
		.amdhsa_float_round_mode_32 0
		.amdhsa_float_round_mode_16_64 0
		.amdhsa_float_denorm_mode_32 3
		.amdhsa_float_denorm_mode_16_64 3
		.amdhsa_dx10_clamp 1
		.amdhsa_ieee_mode 1
		.amdhsa_fp16_overflow 0
		.amdhsa_tg_split 0
		.amdhsa_exception_fp_ieee_invalid_op 0
		.amdhsa_exception_fp_denorm_src 0
		.amdhsa_exception_fp_ieee_div_zero 0
		.amdhsa_exception_fp_ieee_overflow 0
		.amdhsa_exception_fp_ieee_underflow 0
		.amdhsa_exception_fp_ieee_inexact 0
		.amdhsa_exception_int_div_zero 0
	.end_amdhsa_kernel
	.section	.text._ZN9rocsparseL17csrilu0_binsearchILj256ELj32ELb0E21rocsparse_complex_numIfEEEviPKiS4_PT2_S4_PiS4_S7_S7_d21rocsparse_index_base_imNS_24const_host_device_scalarIfEENS9_IdEENS9_IS5_EEb,"axG",@progbits,_ZN9rocsparseL17csrilu0_binsearchILj256ELj32ELb0E21rocsparse_complex_numIfEEEviPKiS4_PT2_S4_PiS4_S7_S7_d21rocsparse_index_base_imNS_24const_host_device_scalarIfEENS9_IdEENS9_IS5_EEb,comdat
.Lfunc_end32:
	.size	_ZN9rocsparseL17csrilu0_binsearchILj256ELj32ELb0E21rocsparse_complex_numIfEEEviPKiS4_PT2_S4_PiS4_S7_S7_d21rocsparse_index_base_imNS_24const_host_device_scalarIfEENS9_IdEENS9_IS5_EEb, .Lfunc_end32-_ZN9rocsparseL17csrilu0_binsearchILj256ELj32ELb0E21rocsparse_complex_numIfEEEviPKiS4_PT2_S4_PiS4_S7_S7_d21rocsparse_index_base_imNS_24const_host_device_scalarIfEENS9_IdEENS9_IS5_EEb
                                        ; -- End function
	.set _ZN9rocsparseL17csrilu0_binsearchILj256ELj32ELb0E21rocsparse_complex_numIfEEEviPKiS4_PT2_S4_PiS4_S7_S7_d21rocsparse_index_base_imNS_24const_host_device_scalarIfEENS9_IdEENS9_IS5_EEb.num_vgpr, 28
	.set _ZN9rocsparseL17csrilu0_binsearchILj256ELj32ELb0E21rocsparse_complex_numIfEEEviPKiS4_PT2_S4_PiS4_S7_S7_d21rocsparse_index_base_imNS_24const_host_device_scalarIfEENS9_IdEENS9_IS5_EEb.num_agpr, 0
	.set _ZN9rocsparseL17csrilu0_binsearchILj256ELj32ELb0E21rocsparse_complex_numIfEEEviPKiS4_PT2_S4_PiS4_S7_S7_d21rocsparse_index_base_imNS_24const_host_device_scalarIfEENS9_IdEENS9_IS5_EEb.numbered_sgpr, 38
	.set _ZN9rocsparseL17csrilu0_binsearchILj256ELj32ELb0E21rocsparse_complex_numIfEEEviPKiS4_PT2_S4_PiS4_S7_S7_d21rocsparse_index_base_imNS_24const_host_device_scalarIfEENS9_IdEENS9_IS5_EEb.num_named_barrier, 0
	.set _ZN9rocsparseL17csrilu0_binsearchILj256ELj32ELb0E21rocsparse_complex_numIfEEEviPKiS4_PT2_S4_PiS4_S7_S7_d21rocsparse_index_base_imNS_24const_host_device_scalarIfEENS9_IdEENS9_IS5_EEb.private_seg_size, 0
	.set _ZN9rocsparseL17csrilu0_binsearchILj256ELj32ELb0E21rocsparse_complex_numIfEEEviPKiS4_PT2_S4_PiS4_S7_S7_d21rocsparse_index_base_imNS_24const_host_device_scalarIfEENS9_IdEENS9_IS5_EEb.uses_vcc, 1
	.set _ZN9rocsparseL17csrilu0_binsearchILj256ELj32ELb0E21rocsparse_complex_numIfEEEviPKiS4_PT2_S4_PiS4_S7_S7_d21rocsparse_index_base_imNS_24const_host_device_scalarIfEENS9_IdEENS9_IS5_EEb.uses_flat_scratch, 0
	.set _ZN9rocsparseL17csrilu0_binsearchILj256ELj32ELb0E21rocsparse_complex_numIfEEEviPKiS4_PT2_S4_PiS4_S7_S7_d21rocsparse_index_base_imNS_24const_host_device_scalarIfEENS9_IdEENS9_IS5_EEb.has_dyn_sized_stack, 0
	.set _ZN9rocsparseL17csrilu0_binsearchILj256ELj32ELb0E21rocsparse_complex_numIfEEEviPKiS4_PT2_S4_PiS4_S7_S7_d21rocsparse_index_base_imNS_24const_host_device_scalarIfEENS9_IdEENS9_IS5_EEb.has_recursion, 0
	.set _ZN9rocsparseL17csrilu0_binsearchILj256ELj32ELb0E21rocsparse_complex_numIfEEEviPKiS4_PT2_S4_PiS4_S7_S7_d21rocsparse_index_base_imNS_24const_host_device_scalarIfEENS9_IdEENS9_IS5_EEb.has_indirect_call, 0
	.section	.AMDGPU.csdata,"",@progbits
; Kernel info:
; codeLenInByte = 2072
; TotalNumSgprs: 44
; NumVgprs: 28
; NumAgprs: 0
; TotalNumVgprs: 28
; ScratchSize: 0
; MemoryBound: 0
; FloatMode: 240
; IeeeMode: 1
; LDSByteSize: 0 bytes/workgroup (compile time only)
; SGPRBlocks: 5
; VGPRBlocks: 3
; NumSGPRsForWavesPerEU: 44
; NumVGPRsForWavesPerEU: 28
; AccumOffset: 28
; Occupancy: 8
; WaveLimiterHint : 1
; COMPUTE_PGM_RSRC2:SCRATCH_EN: 0
; COMPUTE_PGM_RSRC2:USER_SGPR: 2
; COMPUTE_PGM_RSRC2:TRAP_HANDLER: 0
; COMPUTE_PGM_RSRC2:TGID_X_EN: 1
; COMPUTE_PGM_RSRC2:TGID_Y_EN: 0
; COMPUTE_PGM_RSRC2:TGID_Z_EN: 0
; COMPUTE_PGM_RSRC2:TIDIG_COMP_CNT: 0
; COMPUTE_PGM_RSRC3_GFX90A:ACCUM_OFFSET: 6
; COMPUTE_PGM_RSRC3_GFX90A:TG_SPLIT: 0
	.section	.text._ZN9rocsparseL12csrilu0_hashILj256ELj64ELj1E21rocsparse_complex_numIfEEEviPKiS4_PT2_S4_PiS4_S7_S7_d21rocsparse_index_base_imNS_24const_host_device_scalarIfEENS9_IdEENS9_IS5_EEb,"axG",@progbits,_ZN9rocsparseL12csrilu0_hashILj256ELj64ELj1E21rocsparse_complex_numIfEEEviPKiS4_PT2_S4_PiS4_S7_S7_d21rocsparse_index_base_imNS_24const_host_device_scalarIfEENS9_IdEENS9_IS5_EEb,comdat
	.globl	_ZN9rocsparseL12csrilu0_hashILj256ELj64ELj1E21rocsparse_complex_numIfEEEviPKiS4_PT2_S4_PiS4_S7_S7_d21rocsparse_index_base_imNS_24const_host_device_scalarIfEENS9_IdEENS9_IS5_EEb ; -- Begin function _ZN9rocsparseL12csrilu0_hashILj256ELj64ELj1E21rocsparse_complex_numIfEEEviPKiS4_PT2_S4_PiS4_S7_S7_d21rocsparse_index_base_imNS_24const_host_device_scalarIfEENS9_IdEENS9_IS5_EEb
	.p2align	8
	.type	_ZN9rocsparseL12csrilu0_hashILj256ELj64ELj1E21rocsparse_complex_numIfEEEviPKiS4_PT2_S4_PiS4_S7_S7_d21rocsparse_index_base_imNS_24const_host_device_scalarIfEENS9_IdEENS9_IS5_EEb,@function
_ZN9rocsparseL12csrilu0_hashILj256ELj64ELj1E21rocsparse_complex_numIfEEEviPKiS4_PT2_S4_PiS4_S7_S7_d21rocsparse_index_base_imNS_24const_host_device_scalarIfEENS9_IdEENS9_IS5_EEb: ; @_ZN9rocsparseL12csrilu0_hashILj256ELj64ELj1E21rocsparse_complex_numIfEEEviPKiS4_PT2_S4_PiS4_S7_S7_d21rocsparse_index_base_imNS_24const_host_device_scalarIfEENS9_IdEENS9_IS5_EEb
; %bb.0:
	s_load_dword s3, s[0:1], 0x78
	s_load_dwordx2 s[34:35], s[0:1], 0x50
	s_load_dwordx8 s[24:31], s[0:1], 0x58
	s_waitcnt lgkmcnt(0)
	s_bitcmp1_b32 s3, 0
	s_cselect_b64 s[4:5], -1, 0
	s_cmp_eq_u32 s35, 0
	s_cselect_b64 s[12:13], -1, 0
	s_cmp_lg_u32 s35, 0
	s_cselect_b64 s[8:9], -1, 0
	s_or_b64 s[14:15], s[12:13], s[4:5]
	s_xor_b64 s[6:7], s[14:15], -1
	s_and_b64 s[10:11], s[12:13], exec
	s_cselect_b32 s11, 0, s29
	s_cselect_b32 s10, 0, s28
	s_and_b64 vcc, exec, s[14:15]
	s_cbranch_vccnz .LBB33_2
; %bb.1:
	s_load_dword s3, s[26:27], 0x0
	s_mov_b64 s[10:11], s[28:29]
	s_waitcnt lgkmcnt(0)
	v_mov_b32_e32 v17, s3
	s_andn2_b64 vcc, exec, s[6:7]
	v_mov_b64_e32 v[2:3], s[10:11]
	s_cbranch_vccz .LBB33_3
	s_branch .LBB33_4
.LBB33_2:
	v_mov_b32_e32 v1, s26
	v_cndmask_b32_e64 v17, v1, 0, s[12:13]
	s_andn2_b64 vcc, exec, s[6:7]
	v_mov_b64_e32 v[2:3], s[10:11]
	s_cbranch_vccnz .LBB33_4
.LBB33_3:
	v_mov_b64_e32 v[2:3], s[28:29]
	flat_load_dwordx2 v[2:3], v[2:3]
.LBB33_4:
	v_cndmask_b32_e64 v1, 0, 1, s[8:9]
	s_mov_b32 s33, 0
	v_cmp_ne_u32_e64 s[6:7], 1, v1
	s_andn2_b64 vcc, exec, s[8:9]
	s_mov_b32 s35, 0
	s_cbranch_vccnz .LBB33_10
; %bb.5:
	s_xor_b64 s[8:9], s[4:5], -1
	v_cndmask_b32_e64 v1, 0, 1, s[8:9]
	v_cmp_ne_u32_e64 s[4:5], 1, v1
	s_andn2_b64 vcc, exec, s[8:9]
	s_mov_b32 s33, s30
	s_cbranch_vccnz .LBB33_7
; %bb.6:
	s_load_dword s33, s[30:31], 0x0
.LBB33_7:
	s_and_b64 vcc, exec, s[4:5]
	s_cbranch_vccnz .LBB33_9
; %bb.8:
	s_load_dword s31, s[30:31], 0x4
.LBB33_9:
	s_waitcnt lgkmcnt(0)
	s_mov_b32 s35, s31
.LBB33_10:
	s_load_dword s3, s[0:1], 0x0
	s_lshl_b32 s2, s2, 2
	v_and_b32_e32 v16, 63, v0
	v_and_b32_e32 v6, 0xc0, v0
	v_mov_b32_e32 v1, 0x400
	v_lshrrev_b32_e32 v0, 6, v0
	s_and_b32 s2, s2, 0x3fffffc
	v_lshl_or_b32 v5, v6, 2, v1
	v_or_b32_e32 v0, s2, v0
	v_lshl_or_b32 v1, v16, 2, v5
	v_mov_b32_e32 v4, -1
	s_waitcnt lgkmcnt(0)
	v_cmp_gt_i32_e32 vcc, s3, v0
	ds_write_b32 v1, v4
	s_waitcnt lgkmcnt(0)
	s_and_saveexec_b64 s[2:3], vcc
	s_cbranch_execz .LBB33_88
; %bb.11:
	s_load_dwordx16 s[8:23], s[0:1], 0x8
	v_lshlrev_b32_e32 v0, 2, v0
	v_lshlrev_b32_e32 v18, 2, v6
	s_waitcnt lgkmcnt(0)
	global_load_dword v0, v0, s[18:19]
	s_waitcnt vmcnt(0)
	v_ashrrev_i32_e32 v1, 31, v0
	v_lshlrev_b64 v[8:9], 2, v[0:1]
	v_lshl_add_u64 v[10:11], s[8:9], 0, v[8:9]
	global_load_dwordx2 v[10:11], v[10:11], off
	v_lshl_add_u64 v[8:9], s[14:15], 0, v[8:9]
	global_load_dword v4, v[8:9], off
	s_waitcnt vmcnt(1)
	v_subrev_u32_e32 v6, s34, v10
	v_subrev_u32_e32 v7, s34, v11
	v_add_u32_e32 v8, v6, v16
	v_cmp_lt_i32_e32 vcc, v8, v7
	s_and_saveexec_b64 s[2:3], vcc
	s_cbranch_execz .LBB33_34
; %bb.12:
	s_mov_b64 s[4:5], 0
	v_mov_b32_e32 v10, -1
	s_branch .LBB33_14
.LBB33_13:                              ;   in Loop: Header=BB33_14 Depth=1
	s_or_b64 exec, exec, s[18:19]
	v_add_u32_e32 v8, 64, v8
	v_cmp_ge_i32_e32 vcc, v8, v7
	s_or_b64 s[4:5], vcc, s[4:5]
	s_andn2_b64 exec, exec, s[4:5]
	s_cbranch_execz .LBB33_34
.LBB33_14:                              ; =>This Loop Header: Depth=1
                                        ;     Child Loop BB33_23 Depth 2
	v_ashrrev_i32_e32 v9, 31, v8
	v_lshl_add_u64 v[12:13], v[8:9], 2, s[10:11]
	global_load_dword v9, v[12:13], off
	v_mov_b32_e32 v11, 64
	s_mov_b64 s[26:27], 0
                                        ; implicit-def: $sgpr18_sgpr19
                                        ; implicit-def: $sgpr28_sgpr29
                                        ; implicit-def: $sgpr30_sgpr31
	s_waitcnt vmcnt(0)
	v_mul_lo_u32 v13, v9, 39
	s_branch .LBB33_23
.LBB33_15:                              ;   in Loop: Header=BB33_23 Depth=2
	s_or_b64 exec, exec, s[54:55]
	s_orn2_b64 s[50:51], s[50:51], exec
	s_orn2_b64 s[52:53], s[52:53], exec
.LBB33_16:                              ;   in Loop: Header=BB33_23 Depth=2
	s_or_b64 exec, exec, s[48:49]
	s_and_b64 s[50:51], s[50:51], exec
	s_orn2_b64 s[48:49], s[52:53], exec
.LBB33_17:                              ;   in Loop: Header=BB33_23 Depth=2
	s_or_b64 exec, exec, s[46:47]
	s_orn2_b64 s[50:51], s[50:51], exec
	s_orn2_b64 s[46:47], s[48:49], exec
.LBB33_18:                              ;   in Loop: Header=BB33_23 Depth=2
	s_or_b64 exec, exec, s[44:45]
	s_and_b64 s[48:49], s[50:51], exec
	s_orn2_b64 s[44:45], s[46:47], exec
.LBB33_19:                              ;   in Loop: Header=BB33_23 Depth=2
	s_or_b64 exec, exec, s[42:43]
	s_orn2_b64 s[42:43], s[48:49], exec
	s_orn2_b64 s[44:45], s[44:45], exec
.LBB33_20:                              ;   in Loop: Header=BB33_23 Depth=2
	s_or_b64 exec, exec, s[40:41]
	s_and_b64 s[42:43], s[42:43], exec
	s_orn2_b64 s[40:41], s[44:45], exec
.LBB33_21:                              ;   in Loop: Header=BB33_23 Depth=2
	s_or_b64 exec, exec, s[38:39]
	s_andn2_b64 s[30:31], s[30:31], exec
	s_and_b64 s[38:39], s[42:43], exec
	s_or_b64 s[30:31], s[30:31], s[38:39]
	s_andn2_b64 s[28:29], s[28:29], exec
	s_and_b64 s[38:39], s[40:41], exec
	s_or_b64 s[28:29], s[28:29], s[38:39]
.LBB33_22:                              ;   in Loop: Header=BB33_23 Depth=2
	s_or_b64 exec, exec, s[36:37]
	s_and_b64 s[36:37], exec, s[28:29]
	s_or_b64 s[26:27], s[36:37], s[26:27]
	s_andn2_b64 s[18:19], s[18:19], exec
	s_and_b64 s[36:37], s[30:31], exec
	s_or_b64 s[18:19], s[18:19], s[36:37]
	s_andn2_b64 exec, exec, s[26:27]
	s_cbranch_execz .LBB33_32
.LBB33_23:                              ;   Parent Loop BB33_14 Depth=1
                                        ; =>  This Inner Loop Header: Depth=2
	v_and_b32_e32 v12, 63, v13
	v_lshl_add_u32 v14, v12, 2, v5
	ds_read_b32 v15, v14
	s_or_b64 s[30:31], s[30:31], exec
	s_or_b64 s[28:29], s[28:29], exec
	s_waitcnt lgkmcnt(0)
	v_cmp_ne_u32_e32 vcc, v15, v9
	s_and_saveexec_b64 s[36:37], vcc
	s_cbranch_execz .LBB33_22
; %bb.24:                               ;   in Loop: Header=BB33_23 Depth=2
	ds_cmpst_rtn_b32 v14, v14, v10, v9
	s_mov_b64 s[40:41], -1
	s_mov_b64 s[42:43], 0
	s_waitcnt lgkmcnt(0)
	v_cmp_ne_u32_e32 vcc, -1, v14
	s_and_saveexec_b64 s[38:39], vcc
	s_cbranch_execz .LBB33_21
; %bb.25:                               ;   in Loop: Header=BB33_23 Depth=2
	v_add_u32_e32 v12, 1, v13
	v_and_b32_e32 v12, 63, v12
	v_lshl_add_u32 v14, v12, 2, v5
	ds_read_b32 v15, v14
	s_mov_b64 s[44:45], -1
	s_mov_b64 s[42:43], -1
	s_waitcnt lgkmcnt(0)
	v_cmp_ne_u32_e32 vcc, v15, v9
	s_and_saveexec_b64 s[40:41], vcc
	s_cbranch_execz .LBB33_20
; %bb.26:                               ;   in Loop: Header=BB33_23 Depth=2
	ds_cmpst_rtn_b32 v14, v14, v10, v9
	s_mov_b64 s[48:49], 0
	s_waitcnt lgkmcnt(0)
	v_cmp_ne_u32_e32 vcc, -1, v14
	s_and_saveexec_b64 s[42:43], vcc
	s_cbranch_execz .LBB33_19
; %bb.27:                               ;   in Loop: Header=BB33_23 Depth=2
	v_add_u32_e32 v12, 2, v13
	v_and_b32_e32 v12, 63, v12
	v_lshl_add_u32 v14, v12, 2, v5
	ds_read_b32 v15, v14
	s_mov_b64 s[46:47], -1
	s_mov_b64 s[50:51], -1
	s_waitcnt lgkmcnt(0)
	v_cmp_ne_u32_e32 vcc, v15, v9
	s_and_saveexec_b64 s[44:45], vcc
	s_cbranch_execz .LBB33_18
; %bb.28:                               ;   in Loop: Header=BB33_23 Depth=2
	ds_cmpst_rtn_b32 v14, v14, v10, v9
	s_mov_b64 s[48:49], -1
	s_mov_b64 s[50:51], 0
	s_waitcnt lgkmcnt(0)
	v_cmp_ne_u32_e32 vcc, -1, v14
	s_and_saveexec_b64 s[46:47], vcc
	s_cbranch_execz .LBB33_17
; %bb.29:                               ;   in Loop: Header=BB33_23 Depth=2
	v_add_u32_e32 v12, 3, v13
	v_and_b32_e32 v12, 63, v12
	v_lshl_add_u32 v14, v12, 2, v5
	ds_read_b32 v13, v14
	s_mov_b64 s[52:53], -1
	s_mov_b64 s[50:51], -1
	s_waitcnt lgkmcnt(0)
	v_cmp_ne_u32_e32 vcc, v13, v9
                                        ; implicit-def: $vgpr13
	s_and_saveexec_b64 s[48:49], vcc
	s_cbranch_execz .LBB33_16
; %bb.30:                               ;   in Loop: Header=BB33_23 Depth=2
	ds_cmpst_rtn_b32 v13, v14, v10, v9
	s_mov_b64 s[50:51], 0
	s_waitcnt lgkmcnt(0)
	v_cmp_ne_u32_e32 vcc, -1, v13
                                        ; implicit-def: $vgpr13
	s_and_saveexec_b64 s[54:55], vcc
	s_cbranch_execz .LBB33_15
; %bb.31:                               ;   in Loop: Header=BB33_23 Depth=2
	v_add_u32_e32 v11, -4, v11
	v_cmp_eq_u32_e32 vcc, 0, v11
	s_mov_b64 s[50:51], exec
	v_add_u32_e32 v13, 1, v12
	s_orn2_b64 s[52:53], vcc, exec
	s_branch .LBB33_15
.LBB33_32:                              ;   in Loop: Header=BB33_14 Depth=1
	s_or_b64 exec, exec, s[26:27]
	s_xor_b64 s[18:19], s[18:19], -1
	s_and_saveexec_b64 s[26:27], s[18:19]
	s_xor_b64 s[18:19], exec, s[26:27]
	s_cbranch_execz .LBB33_13
; %bb.33:                               ;   in Loop: Header=BB33_14 Depth=1
	v_lshl_add_u32 v9, v12, 2, v18
	ds_write_b32 v9, v8
	s_branch .LBB33_13
.LBB33_34:
	s_or_b64 exec, exec, s[2:3]
	s_waitcnt vmcnt(0)
	v_cmp_lt_i32_e32 vcc, v6, v4
	s_waitcnt lgkmcnt(0)
	s_and_saveexec_b64 s[4:5], vcc
	s_cbranch_execz .LBB33_64
; %bb.35:
	v_add_u32_e32 v19, 1, v16
	s_mov_b64 s[18:19], 0
	s_branch .LBB33_38
.LBB33_36:                              ;   in Loop: Header=BB33_38 Depth=1
	s_or_b64 exec, exec, s[26:27]
	v_add_u32_e32 v6, 1, v6
	v_cmp_ge_i32_e32 vcc, v6, v4
	s_orn2_b64 s[26:27], vcc, exec
.LBB33_37:                              ;   in Loop: Header=BB33_38 Depth=1
	s_or_b64 exec, exec, s[2:3]
	s_and_b64 s[2:3], exec, s[26:27]
	s_or_b64 s[18:19], s[2:3], s[18:19]
	s_andn2_b64 exec, exec, s[18:19]
	s_cbranch_execz .LBB33_64
.LBB33_38:                              ; =>This Loop Header: Depth=1
                                        ;     Child Loop BB33_39 Depth 2
                                        ;     Child Loop BB33_44 Depth 2
                                        ;       Child Loop BB33_53 Depth 3
	v_ashrrev_i32_e32 v7, 31, v6
	v_lshl_add_u64 v[8:9], v[6:7], 2, s[10:11]
	global_load_dword v12, v[8:9], off
	v_lshl_add_u64 v[10:11], v[6:7], 3, s[12:13]
	global_load_dwordx2 v[8:9], v[10:11], off
	s_mov_b64 s[2:3], 0
	s_waitcnt vmcnt(1)
	v_subrev_u32_e32 v12, s34, v12
	v_ashrrev_i32_e32 v13, 31, v12
	v_lshlrev_b64 v[12:13], 2, v[12:13]
	v_lshl_add_u64 v[20:21], s[8:9], 0, v[12:13]
	v_lshl_add_u64 v[22:23], s[14:15], 0, v[12:13]
	global_load_dword v7, v[20:21], off offset:4
	global_load_dword v14, v[22:23], off
	v_lshl_add_u64 v[12:13], s[16:17], 0, v[12:13]
.LBB33_39:                              ;   Parent Loop BB33_38 Depth=1
                                        ; =>  This Inner Loop Header: Depth=2
	global_load_dword v15, v[12:13], off sc1
	s_waitcnt vmcnt(0)
	v_cmp_ne_u32_e32 vcc, 0, v15
	s_or_b64 s[2:3], vcc, s[2:3]
	s_andn2_b64 exec, exec, s[2:3]
	s_cbranch_execnz .LBB33_39
; %bb.40:                               ;   in Loop: Header=BB33_38 Depth=1
	s_or_b64 exec, exec, s[2:3]
	v_subrev_u32_e32 v7, s34, v7
	v_add_u32_e32 v12, -1, v7
	v_cmp_eq_u32_e32 vcc, -1, v14
	buffer_inv sc1
	s_mov_b64 s[26:27], -1
	v_cndmask_b32_e32 v12, v14, v12, vcc
	v_ashrrev_i32_e32 v13, 31, v12
	v_lshl_add_u64 v[14:15], v[12:13], 3, s[12:13]
	global_load_dwordx2 v[14:15], v[14:15], off
	s_waitcnt vmcnt(0)
	v_cmp_neq_f32_e32 vcc, 0, v14
	v_cmp_neq_f32_e64 s[2:3], 0, v15
	s_or_b64 s[28:29], vcc, s[2:3]
	s_and_saveexec_b64 s[2:3], s[28:29]
	s_cbranch_execz .LBB33_37
; %bb.41:                               ;   in Loop: Header=BB33_38 Depth=1
	v_mul_f32_e32 v13, v15, v15
	v_fmac_f32_e32 v13, v14, v14
	v_div_scale_f32 v20, s[26:27], v13, v13, 1.0
	v_rcp_f32_e32 v21, v20
	v_div_scale_f32 v22, vcc, 1.0, v13, 1.0
	v_fma_f32 v23, -v20, v21, 1.0
	v_fmac_f32_e32 v21, v23, v21
	v_mul_f32_e32 v23, v22, v21
	v_fma_f32 v24, -v20, v23, v22
	v_fmac_f32_e32 v23, v24, v21
	v_fma_f32 v20, -v20, v23, v22
	v_div_fmas_f32 v20, v20, v21, v23
	v_xor_b32_e32 v23, 0x80000000, v8
	v_mov_b32_e32 v22, v9
	v_mov_b32_e32 v24, v15
	v_pk_mul_f32 v[22:23], v[22:23], v[24:25] op_sel_hi:[1,0]
	v_div_fixup_f32 v20, v20, v13, 1.0
	v_pk_fma_f32 v[8:9], v[8:9], v[14:15], v[22:23] op_sel_hi:[1,0,1]
	s_nop 0
	v_pk_mul_f32 v[8:9], v[8:9], v[20:21] op_sel_hi:[1,0]
	global_store_dwordx2 v[10:11], v[8:9], off
	v_add_u32_e32 v10, v19, v12
	v_cmp_lt_i32_e32 vcc, v10, v7
	s_and_saveexec_b64 s[26:27], vcc
	s_cbranch_execz .LBB33_36
; %bb.42:                               ;   in Loop: Header=BB33_38 Depth=1
	v_pk_add_f32 v[12:13], v[8:9], 0 neg_lo:[1,1] neg_hi:[1,1]
	s_mov_b64 s[28:29], 0
	v_pk_mov_b32 v[12:13], v[8:9], v[12:13] op_sel:[1,0]
	s_branch .LBB33_44
.LBB33_43:                              ;   in Loop: Header=BB33_44 Depth=2
	s_or_b64 exec, exec, s[30:31]
	v_add_u32_e32 v10, 64, v10
	v_cmp_ge_i32_e32 vcc, v10, v7
	s_or_b64 s[28:29], vcc, s[28:29]
	s_andn2_b64 exec, exec, s[28:29]
	s_cbranch_execz .LBB33_36
.LBB33_44:                              ;   Parent Loop BB33_38 Depth=1
                                        ; =>  This Loop Header: Depth=2
                                        ;       Child Loop BB33_53 Depth 3
	v_ashrrev_i32_e32 v11, 31, v10
	v_lshl_add_u64 v[14:15], v[10:11], 2, s[10:11]
	global_load_dword v14, v[14:15], off
	v_mov_b32_e32 v15, 64
	s_mov_b64 s[36:37], 0
                                        ; implicit-def: $sgpr30_sgpr31
                                        ; implicit-def: $sgpr38_sgpr39
                                        ; implicit-def: $sgpr40_sgpr41
	s_waitcnt vmcnt(0)
	v_mul_lo_u32 v21, v14, 39
	s_branch .LBB33_53
.LBB33_45:                              ;   in Loop: Header=BB33_53 Depth=3
	s_or_b64 exec, exec, s[60:61]
	s_orn2_b64 s[56:57], s[56:57], exec
	s_orn2_b64 s[58:59], s[58:59], exec
.LBB33_46:                              ;   in Loop: Header=BB33_53 Depth=3
	s_or_b64 exec, exec, s[54:55]
	s_and_b64 s[56:57], s[56:57], exec
	s_orn2_b64 s[54:55], s[58:59], exec
.LBB33_47:                              ;   in Loop: Header=BB33_53 Depth=3
	s_or_b64 exec, exec, s[52:53]
	s_orn2_b64 s[56:57], s[56:57], exec
	s_orn2_b64 s[52:53], s[54:55], exec
.LBB33_48:                              ;   in Loop: Header=BB33_53 Depth=3
	s_or_b64 exec, exec, s[50:51]
	s_and_b64 s[54:55], s[56:57], exec
	s_orn2_b64 s[50:51], s[52:53], exec
.LBB33_49:                              ;   in Loop: Header=BB33_53 Depth=3
	s_or_b64 exec, exec, s[48:49]
	s_orn2_b64 s[48:49], s[54:55], exec
	s_orn2_b64 s[50:51], s[50:51], exec
.LBB33_50:                              ;   in Loop: Header=BB33_53 Depth=3
	s_or_b64 exec, exec, s[46:47]
	s_and_b64 s[48:49], s[48:49], exec
	s_orn2_b64 s[46:47], s[50:51], exec
.LBB33_51:                              ;   in Loop: Header=BB33_53 Depth=3
	s_or_b64 exec, exec, s[44:45]
	s_andn2_b64 s[40:41], s[40:41], exec
	s_and_b64 s[44:45], s[48:49], exec
	s_or_b64 s[40:41], s[40:41], s[44:45]
	s_andn2_b64 s[38:39], s[38:39], exec
	s_and_b64 s[44:45], s[46:47], exec
	s_or_b64 s[38:39], s[38:39], s[44:45]
.LBB33_52:                              ;   in Loop: Header=BB33_53 Depth=3
	s_or_b64 exec, exec, s[42:43]
	s_and_b64 s[42:43], exec, s[38:39]
	s_or_b64 s[36:37], s[42:43], s[36:37]
	s_andn2_b64 s[30:31], s[30:31], exec
	s_and_b64 s[42:43], s[40:41], exec
	s_or_b64 s[30:31], s[30:31], s[42:43]
	s_andn2_b64 exec, exec, s[36:37]
	s_cbranch_execz .LBB33_62
.LBB33_53:                              ;   Parent Loop BB33_38 Depth=1
                                        ;     Parent Loop BB33_44 Depth=2
                                        ; =>    This Inner Loop Header: Depth=3
	v_and_b32_e32 v20, 63, v21
	v_lshl_add_u32 v22, v20, 2, v5
	ds_read_b32 v22, v22
	s_or_b64 s[40:41], s[40:41], exec
	s_or_b64 s[38:39], s[38:39], exec
	s_waitcnt lgkmcnt(0)
	v_cmp_ne_u32_e32 vcc, -1, v22
	s_and_saveexec_b64 s[42:43], vcc
	s_cbranch_execz .LBB33_52
; %bb.54:                               ;   in Loop: Header=BB33_53 Depth=3
	v_cmp_ne_u32_e32 vcc, v22, v14
	s_mov_b64 s[46:47], -1
	s_mov_b64 s[48:49], 0
	s_and_saveexec_b64 s[44:45], vcc
	s_cbranch_execz .LBB33_51
; %bb.55:                               ;   in Loop: Header=BB33_53 Depth=3
	v_add_u32_e32 v20, 1, v21
	v_and_b32_e32 v20, 63, v20
	v_lshl_add_u32 v22, v20, 2, v5
	ds_read_b32 v22, v22
	s_mov_b64 s[50:51], -1
	s_mov_b64 s[48:49], -1
	s_waitcnt lgkmcnt(0)
	v_cmp_ne_u32_e32 vcc, -1, v22
	s_and_saveexec_b64 s[46:47], vcc
	s_cbranch_execz .LBB33_50
; %bb.56:                               ;   in Loop: Header=BB33_53 Depth=3
	v_cmp_ne_u32_e32 vcc, v22, v14
	s_mov_b64 s[54:55], 0
	s_and_saveexec_b64 s[48:49], vcc
	s_cbranch_execz .LBB33_49
; %bb.57:                               ;   in Loop: Header=BB33_53 Depth=3
	v_add_u32_e32 v20, 2, v21
	v_and_b32_e32 v20, 63, v20
	v_lshl_add_u32 v22, v20, 2, v5
	ds_read_b32 v22, v22
	s_mov_b64 s[52:53], -1
	s_mov_b64 s[56:57], -1
	s_waitcnt lgkmcnt(0)
	v_cmp_ne_u32_e32 vcc, -1, v22
	s_and_saveexec_b64 s[50:51], vcc
	s_cbranch_execz .LBB33_48
; %bb.58:                               ;   in Loop: Header=BB33_53 Depth=3
	v_cmp_ne_u32_e32 vcc, v22, v14
	s_mov_b64 s[54:55], -1
	s_mov_b64 s[56:57], 0
	s_and_saveexec_b64 s[52:53], vcc
	s_cbranch_execz .LBB33_47
; %bb.59:                               ;   in Loop: Header=BB33_53 Depth=3
	v_add_u32_e32 v20, 3, v21
	v_and_b32_e32 v20, 63, v20
	v_lshl_add_u32 v21, v20, 2, v5
	ds_read_b32 v22, v21
	s_mov_b64 s[58:59], -1
	s_mov_b64 s[56:57], -1
                                        ; implicit-def: $vgpr21
	s_waitcnt lgkmcnt(0)
	v_cmp_ne_u32_e32 vcc, -1, v22
	s_and_saveexec_b64 s[54:55], vcc
	s_cbranch_execz .LBB33_46
; %bb.60:                               ;   in Loop: Header=BB33_53 Depth=3
	v_cmp_ne_u32_e32 vcc, v22, v14
	s_mov_b64 s[56:57], 0
                                        ; implicit-def: $vgpr21
	s_and_saveexec_b64 s[60:61], vcc
	s_cbranch_execz .LBB33_45
; %bb.61:                               ;   in Loop: Header=BB33_53 Depth=3
	v_add_u32_e32 v15, -4, v15
	v_cmp_eq_u32_e32 vcc, 0, v15
	s_mov_b64 s[56:57], exec
	v_add_u32_e32 v21, 1, v20
	s_orn2_b64 s[58:59], vcc, exec
	s_branch .LBB33_45
.LBB33_62:                              ;   in Loop: Header=BB33_44 Depth=2
	s_or_b64 exec, exec, s[36:37]
	s_xor_b64 s[30:31], s[30:31], -1
	s_and_saveexec_b64 s[36:37], s[30:31]
	s_xor_b64 s[30:31], exec, s[36:37]
	s_cbranch_execz .LBB33_43
; %bb.63:                               ;   in Loop: Header=BB33_44 Depth=2
	v_lshl_add_u32 v14, v20, 2, v18
	ds_read_b32 v14, v14
	v_lshl_add_u64 v[20:21], v[10:11], 3, s[12:13]
	s_waitcnt lgkmcnt(0)
	v_ashrrev_i32_e32 v15, 31, v14
	v_lshl_add_u64 v[14:15], v[14:15], 3, s[12:13]
	global_load_dwordx2 v[22:23], v[20:21], off
	global_load_dwordx2 v[24:25], v[14:15], off
	s_waitcnt vmcnt(0)
	v_pk_fma_f32 v[20:21], v[8:9], v[22:23], v[24:25] op_sel_hi:[1,0,1] neg_lo:[1,0,0] neg_hi:[1,0,0]
	s_nop 0
	v_pk_fma_f32 v[20:21], v[12:13], v[22:23], v[20:21] op_sel:[0,1,0]
	global_store_dwordx2 v[14:15], v[20:21], off
	s_branch .LBB33_43
.LBB33_64:
	s_or_b64 exec, exec, s[4:5]
	v_cmp_lt_i32_e32 vcc, -1, v4
	s_and_saveexec_b64 s[8:9], vcc
	s_cbranch_execz .LBB33_86
; %bb.65:
	v_mov_b32_e32 v5, 0
	v_lshl_add_u64 v[8:9], v[4:5], 3, s[12:13]
	global_load_dwordx2 v[6:7], v[8:9], off
	s_waitcnt vmcnt(0)
	v_cmp_gt_f32_e32 vcc, 0, v6
	s_nop 1
	v_cndmask_b32_e64 v4, v6, -v6, vcc
	v_cmp_gt_f32_e32 vcc, 0, v7
	s_nop 1
	v_cndmask_b32_e64 v10, v7, -v7, vcc
	v_cmp_ngt_f32_e32 vcc, v4, v10
	s_and_saveexec_b64 s[2:3], vcc
	s_xor_b64 s[4:5], exec, s[2:3]
	s_cbranch_execz .LBB33_69
; %bb.66:
	v_cmp_neq_f32_e32 vcc, 0, v7
	s_and_saveexec_b64 s[10:11], vcc
	s_cbranch_execz .LBB33_68
; %bb.67:
	v_div_scale_f32 v5, s[2:3], v10, v10, v4
	v_rcp_f32_e32 v11, v5
	v_div_scale_f32 v12, vcc, v4, v10, v4
	s_mov_b32 s2, 0xf800000
	v_fma_f32 v13, -v5, v11, 1.0
	v_fmac_f32_e32 v11, v13, v11
	v_mul_f32_e32 v13, v12, v11
	v_fma_f32 v14, -v5, v13, v12
	v_fmac_f32_e32 v13, v14, v11
	v_fma_f32 v5, -v5, v13, v12
	v_div_fmas_f32 v5, v5, v11, v13
	v_div_fixup_f32 v4, v5, v10, v4
	v_fma_f32 v4, v4, v4, 1.0
	v_mul_f32_e32 v5, 0x4f800000, v4
	v_cmp_gt_f32_e32 vcc, s2, v4
	s_nop 1
	v_cndmask_b32_e32 v4, v4, v5, vcc
	v_sqrt_f32_e32 v5, v4
	s_nop 0
	v_add_u32_e32 v11, -1, v5
	v_fma_f32 v12, -v11, v5, v4
	v_cmp_ge_f32_e64 s[2:3], 0, v12
	v_add_u32_e32 v12, 1, v5
	s_nop 0
	v_cndmask_b32_e64 v11, v5, v11, s[2:3]
	v_fma_f32 v5, -v12, v5, v4
	v_cmp_lt_f32_e64 s[2:3], 0, v5
	s_nop 1
	v_cndmask_b32_e64 v5, v11, v12, s[2:3]
	v_mul_f32_e32 v11, 0x37800000, v5
	v_cndmask_b32_e32 v5, v5, v11, vcc
	v_mov_b32_e32 v11, 0x260
	v_cmp_class_f32_e32 vcc, v4, v11
	s_nop 1
	v_cndmask_b32_e32 v4, v5, v4, vcc
	v_mul_f32_e32 v5, v10, v4
.LBB33_68:
	s_or_b64 exec, exec, s[10:11]
                                        ; implicit-def: $vgpr4
                                        ; implicit-def: $vgpr10
.LBB33_69:
	s_andn2_saveexec_b64 s[4:5], s[4:5]
	s_cbranch_execz .LBB33_71
; %bb.70:
	v_div_scale_f32 v5, s[2:3], v4, v4, v10
	v_rcp_f32_e32 v11, v5
	v_div_scale_f32 v12, vcc, v10, v4, v10
	s_mov_b32 s2, 0xf800000
	v_fma_f32 v13, -v5, v11, 1.0
	v_fmac_f32_e32 v11, v13, v11
	v_mul_f32_e32 v13, v12, v11
	v_fma_f32 v14, -v5, v13, v12
	v_fmac_f32_e32 v13, v14, v11
	v_fma_f32 v5, -v5, v13, v12
	v_div_fmas_f32 v5, v5, v11, v13
	v_div_fixup_f32 v5, v5, v4, v10
	v_fma_f32 v5, v5, v5, 1.0
	v_mul_f32_e32 v10, 0x4f800000, v5
	v_cmp_gt_f32_e32 vcc, s2, v5
	s_nop 1
	v_cndmask_b32_e32 v5, v5, v10, vcc
	v_sqrt_f32_e32 v10, v5
	s_nop 0
	v_add_u32_e32 v11, -1, v10
	v_fma_f32 v12, -v11, v10, v5
	v_cmp_ge_f32_e64 s[2:3], 0, v12
	v_add_u32_e32 v12, 1, v10
	s_nop 0
	v_cndmask_b32_e64 v11, v10, v11, s[2:3]
	v_fma_f32 v10, -v12, v10, v5
	v_cmp_lt_f32_e64 s[2:3], 0, v10
	s_nop 1
	v_cndmask_b32_e64 v10, v11, v12, s[2:3]
	v_mul_f32_e32 v11, 0x37800000, v10
	v_cndmask_b32_e32 v10, v10, v11, vcc
	v_mov_b32_e32 v11, 0x260
	v_cmp_class_f32_e32 vcc, v5, v11
	s_nop 1
	v_cndmask_b32_e32 v5, v10, v5, vcc
	v_mul_f32_e32 v5, v4, v5
.LBB33_71:
	s_or_b64 exec, exec, s[4:5]
	v_cvt_f64_f32_e32 v[4:5], v5
	v_cmp_eq_u32_e64 s[4:5], 0, v16
	s_and_b64 vcc, exec, s[6:7]
	s_mov_b64 s[2:3], -1
	s_cbranch_vccnz .LBB33_75
; %bb.72:
	s_cmp_eq_u64 s[24:25], 8
	v_cvt_f64_f32_e32 v[10:11], v17
	s_cselect_b64 vcc, -1, 0
	v_cndmask_b32_e32 v3, v11, v3, vcc
	v_cndmask_b32_e32 v2, v10, v2, vcc
	v_cmp_ge_f64_e32 vcc, v[2:3], v[4:5]
	s_and_b64 s[6:7], s[4:5], vcc
	s_and_saveexec_b64 s[2:3], s[6:7]
	s_cbranch_execz .LBB33_74
; %bb.73:
	v_mov_b32_e32 v2, s33
	v_mov_b32_e32 v3, s35
	global_store_dwordx2 v[8:9], v[2:3], off
	buffer_wbl2 sc1
	s_waitcnt vmcnt(0)
	buffer_inv sc1
.LBB33_74:
	s_or_b64 exec, exec, s[2:3]
	s_mov_b64 s[2:3], 0
.LBB33_75:
	s_andn2_b64 vcc, exec, s[2:3]
	s_cbranch_vccnz .LBB33_86
; %bb.76:
	s_load_dwordx2 s[0:1], s[0:1], 0x48
	v_add_u32_e32 v2, s34, v0
	s_waitcnt lgkmcnt(0)
	v_cmp_ge_f64_e32 vcc, s[0:1], v[4:5]
	s_and_b64 s[2:3], s[4:5], vcc
	s_and_saveexec_b64 s[0:1], s[2:3]
	s_cbranch_execz .LBB33_81
; %bb.77:
	s_mov_b64 s[2:3], exec
	s_brev_b32 s6, -2
.LBB33_78:                              ; =>This Inner Loop Header: Depth=1
	s_ff1_i32_b64 s7, s[2:3]
	v_readlane_b32 s12, v2, s7
	s_lshl_b64 s[10:11], 1, s7
	s_min_i32 s6, s6, s12
	s_andn2_b64 s[2:3], s[2:3], s[10:11]
	s_cmp_lg_u64 s[2:3], 0
	s_cbranch_scc1 .LBB33_78
; %bb.79:
	v_mbcnt_lo_u32_b32 v3, exec_lo, 0
	v_mbcnt_hi_u32_b32 v3, exec_hi, v3
	v_cmp_eq_u32_e32 vcc, 0, v3
	s_and_saveexec_b64 s[2:3], vcc
	s_xor_b64 s[2:3], exec, s[2:3]
	s_cbranch_execz .LBB33_81
; %bb.80:
	v_mov_b32_e32 v3, 0
	v_mov_b32_e32 v4, s6
	global_atomic_smin v3, v4, s[22:23]
.LBB33_81:
	s_or_b64 exec, exec, s[0:1]
	v_cmp_eq_f32_e32 vcc, 0, v6
	v_cmp_eq_f32_e64 s[0:1], 0, v7
	s_and_b64 s[0:1], vcc, s[0:1]
	s_and_b64 s[0:1], s[4:5], s[0:1]
	s_and_b64 exec, exec, s[0:1]
	s_cbranch_execz .LBB33_86
; %bb.82:
	s_mov_b64 s[0:1], exec
	s_brev_b32 s2, -2
.LBB33_83:                              ; =>This Inner Loop Header: Depth=1
	s_ff1_i32_b64 s3, s[0:1]
	v_readlane_b32 s6, v2, s3
	s_lshl_b64 s[4:5], 1, s3
	s_min_i32 s2, s2, s6
	s_andn2_b64 s[0:1], s[0:1], s[4:5]
	s_cmp_lg_u64 s[0:1], 0
	s_cbranch_scc1 .LBB33_83
; %bb.84:
	v_mbcnt_lo_u32_b32 v2, exec_lo, 0
	v_mbcnt_hi_u32_b32 v2, exec_hi, v2
	v_cmp_eq_u32_e32 vcc, 0, v2
	s_and_saveexec_b64 s[0:1], vcc
	s_xor_b64 s[0:1], exec, s[0:1]
	s_cbranch_execz .LBB33_86
; %bb.85:
	v_mov_b32_e32 v2, 0
	v_mov_b32_e32 v3, s2
	global_atomic_smin v2, v3, s[20:21]
.LBB33_86:
	s_or_b64 exec, exec, s[8:9]
	v_cmp_eq_u32_e32 vcc, 0, v16
	buffer_wbl2 sc1
	s_waitcnt vmcnt(0)
	buffer_inv sc1
	s_and_b64 exec, exec, vcc
	s_cbranch_execz .LBB33_88
; %bb.87:
	v_lshl_add_u64 v[0:1], v[0:1], 2, s[16:17]
	v_mov_b32_e32 v2, 1
	buffer_wbl2 sc1
	global_store_dword v[0:1], v2, off sc1
.LBB33_88:
	s_endpgm
	.section	.rodata,"a",@progbits
	.p2align	6, 0x0
	.amdhsa_kernel _ZN9rocsparseL12csrilu0_hashILj256ELj64ELj1E21rocsparse_complex_numIfEEEviPKiS4_PT2_S4_PiS4_S7_S7_d21rocsparse_index_base_imNS_24const_host_device_scalarIfEENS9_IdEENS9_IS5_EEb
		.amdhsa_group_segment_fixed_size 2048
		.amdhsa_private_segment_fixed_size 0
		.amdhsa_kernarg_size 124
		.amdhsa_user_sgpr_count 2
		.amdhsa_user_sgpr_dispatch_ptr 0
		.amdhsa_user_sgpr_queue_ptr 0
		.amdhsa_user_sgpr_kernarg_segment_ptr 1
		.amdhsa_user_sgpr_dispatch_id 0
		.amdhsa_user_sgpr_kernarg_preload_length 0
		.amdhsa_user_sgpr_kernarg_preload_offset 0
		.amdhsa_user_sgpr_private_segment_size 0
		.amdhsa_uses_dynamic_stack 0
		.amdhsa_enable_private_segment 0
		.amdhsa_system_sgpr_workgroup_id_x 1
		.amdhsa_system_sgpr_workgroup_id_y 0
		.amdhsa_system_sgpr_workgroup_id_z 0
		.amdhsa_system_sgpr_workgroup_info 0
		.amdhsa_system_vgpr_workitem_id 0
		.amdhsa_next_free_vgpr 26
		.amdhsa_next_free_sgpr 62
		.amdhsa_accum_offset 28
		.amdhsa_reserve_vcc 1
		.amdhsa_float_round_mode_32 0
		.amdhsa_float_round_mode_16_64 0
		.amdhsa_float_denorm_mode_32 3
		.amdhsa_float_denorm_mode_16_64 3
		.amdhsa_dx10_clamp 1
		.amdhsa_ieee_mode 1
		.amdhsa_fp16_overflow 0
		.amdhsa_tg_split 0
		.amdhsa_exception_fp_ieee_invalid_op 0
		.amdhsa_exception_fp_denorm_src 0
		.amdhsa_exception_fp_ieee_div_zero 0
		.amdhsa_exception_fp_ieee_overflow 0
		.amdhsa_exception_fp_ieee_underflow 0
		.amdhsa_exception_fp_ieee_inexact 0
		.amdhsa_exception_int_div_zero 0
	.end_amdhsa_kernel
	.section	.text._ZN9rocsparseL12csrilu0_hashILj256ELj64ELj1E21rocsparse_complex_numIfEEEviPKiS4_PT2_S4_PiS4_S7_S7_d21rocsparse_index_base_imNS_24const_host_device_scalarIfEENS9_IdEENS9_IS5_EEb,"axG",@progbits,_ZN9rocsparseL12csrilu0_hashILj256ELj64ELj1E21rocsparse_complex_numIfEEEviPKiS4_PT2_S4_PiS4_S7_S7_d21rocsparse_index_base_imNS_24const_host_device_scalarIfEENS9_IdEENS9_IS5_EEb,comdat
.Lfunc_end33:
	.size	_ZN9rocsparseL12csrilu0_hashILj256ELj64ELj1E21rocsparse_complex_numIfEEEviPKiS4_PT2_S4_PiS4_S7_S7_d21rocsparse_index_base_imNS_24const_host_device_scalarIfEENS9_IdEENS9_IS5_EEb, .Lfunc_end33-_ZN9rocsparseL12csrilu0_hashILj256ELj64ELj1E21rocsparse_complex_numIfEEEviPKiS4_PT2_S4_PiS4_S7_S7_d21rocsparse_index_base_imNS_24const_host_device_scalarIfEENS9_IdEENS9_IS5_EEb
                                        ; -- End function
	.set _ZN9rocsparseL12csrilu0_hashILj256ELj64ELj1E21rocsparse_complex_numIfEEEviPKiS4_PT2_S4_PiS4_S7_S7_d21rocsparse_index_base_imNS_24const_host_device_scalarIfEENS9_IdEENS9_IS5_EEb.num_vgpr, 26
	.set _ZN9rocsparseL12csrilu0_hashILj256ELj64ELj1E21rocsparse_complex_numIfEEEviPKiS4_PT2_S4_PiS4_S7_S7_d21rocsparse_index_base_imNS_24const_host_device_scalarIfEENS9_IdEENS9_IS5_EEb.num_agpr, 0
	.set _ZN9rocsparseL12csrilu0_hashILj256ELj64ELj1E21rocsparse_complex_numIfEEEviPKiS4_PT2_S4_PiS4_S7_S7_d21rocsparse_index_base_imNS_24const_host_device_scalarIfEENS9_IdEENS9_IS5_EEb.numbered_sgpr, 62
	.set _ZN9rocsparseL12csrilu0_hashILj256ELj64ELj1E21rocsparse_complex_numIfEEEviPKiS4_PT2_S4_PiS4_S7_S7_d21rocsparse_index_base_imNS_24const_host_device_scalarIfEENS9_IdEENS9_IS5_EEb.num_named_barrier, 0
	.set _ZN9rocsparseL12csrilu0_hashILj256ELj64ELj1E21rocsparse_complex_numIfEEEviPKiS4_PT2_S4_PiS4_S7_S7_d21rocsparse_index_base_imNS_24const_host_device_scalarIfEENS9_IdEENS9_IS5_EEb.private_seg_size, 0
	.set _ZN9rocsparseL12csrilu0_hashILj256ELj64ELj1E21rocsparse_complex_numIfEEEviPKiS4_PT2_S4_PiS4_S7_S7_d21rocsparse_index_base_imNS_24const_host_device_scalarIfEENS9_IdEENS9_IS5_EEb.uses_vcc, 1
	.set _ZN9rocsparseL12csrilu0_hashILj256ELj64ELj1E21rocsparse_complex_numIfEEEviPKiS4_PT2_S4_PiS4_S7_S7_d21rocsparse_index_base_imNS_24const_host_device_scalarIfEENS9_IdEENS9_IS5_EEb.uses_flat_scratch, 0
	.set _ZN9rocsparseL12csrilu0_hashILj256ELj64ELj1E21rocsparse_complex_numIfEEEviPKiS4_PT2_S4_PiS4_S7_S7_d21rocsparse_index_base_imNS_24const_host_device_scalarIfEENS9_IdEENS9_IS5_EEb.has_dyn_sized_stack, 0
	.set _ZN9rocsparseL12csrilu0_hashILj256ELj64ELj1E21rocsparse_complex_numIfEEEviPKiS4_PT2_S4_PiS4_S7_S7_d21rocsparse_index_base_imNS_24const_host_device_scalarIfEENS9_IdEENS9_IS5_EEb.has_recursion, 0
	.set _ZN9rocsparseL12csrilu0_hashILj256ELj64ELj1E21rocsparse_complex_numIfEEEviPKiS4_PT2_S4_PiS4_S7_S7_d21rocsparse_index_base_imNS_24const_host_device_scalarIfEENS9_IdEENS9_IS5_EEb.has_indirect_call, 0
	.section	.AMDGPU.csdata,"",@progbits
; Kernel info:
; codeLenInByte = 3048
; TotalNumSgprs: 68
; NumVgprs: 26
; NumAgprs: 0
; TotalNumVgprs: 26
; ScratchSize: 0
; MemoryBound: 0
; FloatMode: 240
; IeeeMode: 1
; LDSByteSize: 2048 bytes/workgroup (compile time only)
; SGPRBlocks: 8
; VGPRBlocks: 3
; NumSGPRsForWavesPerEU: 68
; NumVGPRsForWavesPerEU: 26
; AccumOffset: 28
; Occupancy: 8
; WaveLimiterHint : 1
; COMPUTE_PGM_RSRC2:SCRATCH_EN: 0
; COMPUTE_PGM_RSRC2:USER_SGPR: 2
; COMPUTE_PGM_RSRC2:TRAP_HANDLER: 0
; COMPUTE_PGM_RSRC2:TGID_X_EN: 1
; COMPUTE_PGM_RSRC2:TGID_Y_EN: 0
; COMPUTE_PGM_RSRC2:TGID_Z_EN: 0
; COMPUTE_PGM_RSRC2:TIDIG_COMP_CNT: 0
; COMPUTE_PGM_RSRC3_GFX90A:ACCUM_OFFSET: 6
; COMPUTE_PGM_RSRC3_GFX90A:TG_SPLIT: 0
	.section	.text._ZN9rocsparseL12csrilu0_hashILj256ELj64ELj2E21rocsparse_complex_numIfEEEviPKiS4_PT2_S4_PiS4_S7_S7_d21rocsparse_index_base_imNS_24const_host_device_scalarIfEENS9_IdEENS9_IS5_EEb,"axG",@progbits,_ZN9rocsparseL12csrilu0_hashILj256ELj64ELj2E21rocsparse_complex_numIfEEEviPKiS4_PT2_S4_PiS4_S7_S7_d21rocsparse_index_base_imNS_24const_host_device_scalarIfEENS9_IdEENS9_IS5_EEb,comdat
	.globl	_ZN9rocsparseL12csrilu0_hashILj256ELj64ELj2E21rocsparse_complex_numIfEEEviPKiS4_PT2_S4_PiS4_S7_S7_d21rocsparse_index_base_imNS_24const_host_device_scalarIfEENS9_IdEENS9_IS5_EEb ; -- Begin function _ZN9rocsparseL12csrilu0_hashILj256ELj64ELj2E21rocsparse_complex_numIfEEEviPKiS4_PT2_S4_PiS4_S7_S7_d21rocsparse_index_base_imNS_24const_host_device_scalarIfEENS9_IdEENS9_IS5_EEb
	.p2align	8
	.type	_ZN9rocsparseL12csrilu0_hashILj256ELj64ELj2E21rocsparse_complex_numIfEEEviPKiS4_PT2_S4_PiS4_S7_S7_d21rocsparse_index_base_imNS_24const_host_device_scalarIfEENS9_IdEENS9_IS5_EEb,@function
_ZN9rocsparseL12csrilu0_hashILj256ELj64ELj2E21rocsparse_complex_numIfEEEviPKiS4_PT2_S4_PiS4_S7_S7_d21rocsparse_index_base_imNS_24const_host_device_scalarIfEENS9_IdEENS9_IS5_EEb: ; @_ZN9rocsparseL12csrilu0_hashILj256ELj64ELj2E21rocsparse_complex_numIfEEEviPKiS4_PT2_S4_PiS4_S7_S7_d21rocsparse_index_base_imNS_24const_host_device_scalarIfEENS9_IdEENS9_IS5_EEb
; %bb.0:
	s_load_dword s3, s[0:1], 0x78
	s_load_dwordx2 s[34:35], s[0:1], 0x50
	s_load_dwordx8 s[24:31], s[0:1], 0x58
	s_waitcnt lgkmcnt(0)
	s_bitcmp1_b32 s3, 0
	s_cselect_b64 s[4:5], -1, 0
	s_cmp_eq_u32 s35, 0
	s_cselect_b64 s[12:13], -1, 0
	s_cmp_lg_u32 s35, 0
	s_cselect_b64 s[8:9], -1, 0
	s_or_b64 s[14:15], s[12:13], s[4:5]
	s_xor_b64 s[6:7], s[14:15], -1
	s_and_b64 s[10:11], s[12:13], exec
	s_cselect_b32 s11, 0, s29
	s_cselect_b32 s10, 0, s28
	s_and_b64 vcc, exec, s[14:15]
	s_cbranch_vccnz .LBB34_2
; %bb.1:
	s_load_dword s3, s[26:27], 0x0
	s_mov_b64 s[10:11], s[28:29]
	s_waitcnt lgkmcnt(0)
	v_mov_b32_e32 v17, s3
	s_andn2_b64 vcc, exec, s[6:7]
	v_mov_b64_e32 v[2:3], s[10:11]
	s_cbranch_vccz .LBB34_3
	s_branch .LBB34_4
.LBB34_2:
	v_mov_b32_e32 v1, s26
	v_cndmask_b32_e64 v17, v1, 0, s[12:13]
	s_andn2_b64 vcc, exec, s[6:7]
	v_mov_b64_e32 v[2:3], s[10:11]
	s_cbranch_vccnz .LBB34_4
.LBB34_3:
	v_mov_b64_e32 v[2:3], s[28:29]
	flat_load_dwordx2 v[2:3], v[2:3]
.LBB34_4:
	v_cndmask_b32_e64 v1, 0, 1, s[8:9]
	s_mov_b32 s33, 0
	v_cmp_ne_u32_e64 s[6:7], 1, v1
	s_andn2_b64 vcc, exec, s[8:9]
	s_mov_b32 s35, 0
	s_cbranch_vccnz .LBB34_10
; %bb.5:
	s_xor_b64 s[8:9], s[4:5], -1
	v_cndmask_b32_e64 v1, 0, 1, s[8:9]
	v_cmp_ne_u32_e64 s[4:5], 1, v1
	s_andn2_b64 vcc, exec, s[8:9]
	s_mov_b32 s33, s30
	s_cbranch_vccnz .LBB34_7
; %bb.6:
	s_load_dword s33, s[30:31], 0x0
.LBB34_7:
	s_and_b64 vcc, exec, s[4:5]
	s_cbranch_vccnz .LBB34_9
; %bb.8:
	s_load_dword s31, s[30:31], 0x4
.LBB34_9:
	s_waitcnt lgkmcnt(0)
	s_mov_b32 s35, s31
.LBB34_10:
	s_load_dword s3, s[0:1], 0x0
	v_lshlrev_b32_e32 v1, 1, v0
	s_lshl_b32 s2, s2, 2
	v_and_b32_e32 v16, 63, v0
	v_and_b32_e32 v6, 0x180, v1
	v_mov_b32_e32 v1, 0x800
	v_lshrrev_b32_e32 v0, 6, v0
	s_and_b32 s2, s2, 0x3fffffc
	v_lshl_or_b32 v5, v6, 2, v1
	v_or_b32_e32 v0, s2, v0
	v_lshl_or_b32 v1, v16, 2, v5
	v_mov_b32_e32 v4, -1
	s_waitcnt lgkmcnt(0)
	v_cmp_gt_i32_e32 vcc, s3, v0
	ds_write2st64_b32 v1, v4, v4 offset1:1
	s_waitcnt lgkmcnt(0)
	s_and_saveexec_b64 s[2:3], vcc
	s_cbranch_execz .LBB34_88
; %bb.11:
	s_load_dwordx16 s[8:23], s[0:1], 0x8
	v_lshlrev_b32_e32 v0, 2, v0
	v_lshlrev_b32_e32 v18, 2, v6
	s_waitcnt lgkmcnt(0)
	global_load_dword v0, v0, s[18:19]
	s_waitcnt vmcnt(0)
	v_ashrrev_i32_e32 v1, 31, v0
	v_lshlrev_b64 v[8:9], 2, v[0:1]
	v_lshl_add_u64 v[10:11], s[8:9], 0, v[8:9]
	global_load_dwordx2 v[10:11], v[10:11], off
	v_lshl_add_u64 v[8:9], s[14:15], 0, v[8:9]
	global_load_dword v4, v[8:9], off
	s_waitcnt vmcnt(1)
	v_subrev_u32_e32 v6, s34, v10
	v_subrev_u32_e32 v7, s34, v11
	v_add_u32_e32 v8, v6, v16
	v_cmp_lt_i32_e32 vcc, v8, v7
	s_and_saveexec_b64 s[2:3], vcc
	s_cbranch_execz .LBB34_34
; %bb.12:
	s_mov_b64 s[4:5], 0
	s_movk_i32 s56, 0x67
	v_mov_b32_e32 v10, -1
	s_branch .LBB34_14
.LBB34_13:                              ;   in Loop: Header=BB34_14 Depth=1
	s_or_b64 exec, exec, s[18:19]
	v_add_u32_e32 v8, 64, v8
	v_cmp_ge_i32_e32 vcc, v8, v7
	s_or_b64 s[4:5], vcc, s[4:5]
	s_andn2_b64 exec, exec, s[4:5]
	s_cbranch_execz .LBB34_34
.LBB34_14:                              ; =>This Loop Header: Depth=1
                                        ;     Child Loop BB34_23 Depth 2
	v_ashrrev_i32_e32 v9, 31, v8
	v_lshl_add_u64 v[12:13], v[8:9], 2, s[10:11]
	global_load_dword v9, v[12:13], off
	v_mov_b32_e32 v11, 0x80
	s_mov_b64 s[26:27], 0
                                        ; implicit-def: $sgpr18_sgpr19
                                        ; implicit-def: $sgpr28_sgpr29
                                        ; implicit-def: $sgpr30_sgpr31
	s_waitcnt vmcnt(0)
	v_mul_lo_u32 v13, v9, s56
	s_branch .LBB34_23
.LBB34_15:                              ;   in Loop: Header=BB34_23 Depth=2
	s_or_b64 exec, exec, s[54:55]
	s_orn2_b64 s[50:51], s[50:51], exec
	s_orn2_b64 s[52:53], s[52:53], exec
.LBB34_16:                              ;   in Loop: Header=BB34_23 Depth=2
	s_or_b64 exec, exec, s[48:49]
	s_and_b64 s[50:51], s[50:51], exec
	s_orn2_b64 s[48:49], s[52:53], exec
.LBB34_17:                              ;   in Loop: Header=BB34_23 Depth=2
	s_or_b64 exec, exec, s[46:47]
	s_orn2_b64 s[50:51], s[50:51], exec
	s_orn2_b64 s[46:47], s[48:49], exec
.LBB34_18:                              ;   in Loop: Header=BB34_23 Depth=2
	s_or_b64 exec, exec, s[44:45]
	s_and_b64 s[48:49], s[50:51], exec
	s_orn2_b64 s[44:45], s[46:47], exec
.LBB34_19:                              ;   in Loop: Header=BB34_23 Depth=2
	s_or_b64 exec, exec, s[42:43]
	s_orn2_b64 s[42:43], s[48:49], exec
	s_orn2_b64 s[44:45], s[44:45], exec
.LBB34_20:                              ;   in Loop: Header=BB34_23 Depth=2
	s_or_b64 exec, exec, s[40:41]
	s_and_b64 s[42:43], s[42:43], exec
	s_orn2_b64 s[40:41], s[44:45], exec
.LBB34_21:                              ;   in Loop: Header=BB34_23 Depth=2
	s_or_b64 exec, exec, s[38:39]
	s_andn2_b64 s[30:31], s[30:31], exec
	s_and_b64 s[38:39], s[42:43], exec
	s_or_b64 s[30:31], s[30:31], s[38:39]
	s_andn2_b64 s[28:29], s[28:29], exec
	s_and_b64 s[38:39], s[40:41], exec
	s_or_b64 s[28:29], s[28:29], s[38:39]
.LBB34_22:                              ;   in Loop: Header=BB34_23 Depth=2
	s_or_b64 exec, exec, s[36:37]
	s_and_b64 s[36:37], exec, s[28:29]
	s_or_b64 s[26:27], s[36:37], s[26:27]
	s_andn2_b64 s[18:19], s[18:19], exec
	s_and_b64 s[36:37], s[30:31], exec
	s_or_b64 s[18:19], s[18:19], s[36:37]
	s_andn2_b64 exec, exec, s[26:27]
	s_cbranch_execz .LBB34_32
.LBB34_23:                              ;   Parent Loop BB34_14 Depth=1
                                        ; =>  This Inner Loop Header: Depth=2
	v_and_b32_e32 v12, 0x7f, v13
	v_lshl_add_u32 v14, v12, 2, v5
	ds_read_b32 v15, v14
	s_or_b64 s[30:31], s[30:31], exec
	s_or_b64 s[28:29], s[28:29], exec
	s_waitcnt lgkmcnt(0)
	v_cmp_ne_u32_e32 vcc, v15, v9
	s_and_saveexec_b64 s[36:37], vcc
	s_cbranch_execz .LBB34_22
; %bb.24:                               ;   in Loop: Header=BB34_23 Depth=2
	ds_cmpst_rtn_b32 v14, v14, v10, v9
	s_mov_b64 s[40:41], -1
	s_mov_b64 s[42:43], 0
	s_waitcnt lgkmcnt(0)
	v_cmp_ne_u32_e32 vcc, -1, v14
	s_and_saveexec_b64 s[38:39], vcc
	s_cbranch_execz .LBB34_21
; %bb.25:                               ;   in Loop: Header=BB34_23 Depth=2
	v_add_u32_e32 v12, 1, v13
	v_and_b32_e32 v12, 0x7f, v12
	v_lshl_add_u32 v14, v12, 2, v5
	ds_read_b32 v15, v14
	s_mov_b64 s[44:45], -1
	s_mov_b64 s[42:43], -1
	s_waitcnt lgkmcnt(0)
	v_cmp_ne_u32_e32 vcc, v15, v9
	s_and_saveexec_b64 s[40:41], vcc
	s_cbranch_execz .LBB34_20
; %bb.26:                               ;   in Loop: Header=BB34_23 Depth=2
	ds_cmpst_rtn_b32 v14, v14, v10, v9
	s_mov_b64 s[48:49], 0
	s_waitcnt lgkmcnt(0)
	v_cmp_ne_u32_e32 vcc, -1, v14
	s_and_saveexec_b64 s[42:43], vcc
	s_cbranch_execz .LBB34_19
; %bb.27:                               ;   in Loop: Header=BB34_23 Depth=2
	v_add_u32_e32 v12, 2, v13
	v_and_b32_e32 v12, 0x7f, v12
	v_lshl_add_u32 v14, v12, 2, v5
	ds_read_b32 v15, v14
	s_mov_b64 s[46:47], -1
	s_mov_b64 s[50:51], -1
	s_waitcnt lgkmcnt(0)
	v_cmp_ne_u32_e32 vcc, v15, v9
	s_and_saveexec_b64 s[44:45], vcc
	s_cbranch_execz .LBB34_18
; %bb.28:                               ;   in Loop: Header=BB34_23 Depth=2
	ds_cmpst_rtn_b32 v14, v14, v10, v9
	s_mov_b64 s[48:49], -1
	s_mov_b64 s[50:51], 0
	s_waitcnt lgkmcnt(0)
	v_cmp_ne_u32_e32 vcc, -1, v14
	s_and_saveexec_b64 s[46:47], vcc
	s_cbranch_execz .LBB34_17
; %bb.29:                               ;   in Loop: Header=BB34_23 Depth=2
	v_add_u32_e32 v12, 3, v13
	v_and_b32_e32 v12, 0x7f, v12
	v_lshl_add_u32 v14, v12, 2, v5
	ds_read_b32 v13, v14
	s_mov_b64 s[52:53], -1
	s_mov_b64 s[50:51], -1
	s_waitcnt lgkmcnt(0)
	v_cmp_ne_u32_e32 vcc, v13, v9
                                        ; implicit-def: $vgpr13
	s_and_saveexec_b64 s[48:49], vcc
	s_cbranch_execz .LBB34_16
; %bb.30:                               ;   in Loop: Header=BB34_23 Depth=2
	ds_cmpst_rtn_b32 v13, v14, v10, v9
	s_mov_b64 s[50:51], 0
	s_waitcnt lgkmcnt(0)
	v_cmp_ne_u32_e32 vcc, -1, v13
                                        ; implicit-def: $vgpr13
	s_and_saveexec_b64 s[54:55], vcc
	s_cbranch_execz .LBB34_15
; %bb.31:                               ;   in Loop: Header=BB34_23 Depth=2
	v_add_u32_e32 v11, -4, v11
	v_cmp_eq_u32_e32 vcc, 0, v11
	s_mov_b64 s[50:51], exec
	v_add_u32_e32 v13, 1, v12
	s_orn2_b64 s[52:53], vcc, exec
	s_branch .LBB34_15
.LBB34_32:                              ;   in Loop: Header=BB34_14 Depth=1
	s_or_b64 exec, exec, s[26:27]
	s_xor_b64 s[18:19], s[18:19], -1
	s_and_saveexec_b64 s[26:27], s[18:19]
	s_xor_b64 s[18:19], exec, s[26:27]
	s_cbranch_execz .LBB34_13
; %bb.33:                               ;   in Loop: Header=BB34_14 Depth=1
	v_lshl_add_u32 v9, v12, 2, v18
	ds_write_b32 v9, v8
	s_branch .LBB34_13
.LBB34_34:
	s_or_b64 exec, exec, s[2:3]
	s_waitcnt vmcnt(0)
	v_cmp_lt_i32_e32 vcc, v6, v4
	s_waitcnt lgkmcnt(0)
	s_and_saveexec_b64 s[4:5], vcc
	s_cbranch_execz .LBB34_64
; %bb.35:
	v_add_u32_e32 v19, 1, v16
	s_mov_b64 s[18:19], 0
	s_movk_i32 s62, 0x67
	s_branch .LBB34_38
.LBB34_36:                              ;   in Loop: Header=BB34_38 Depth=1
	s_or_b64 exec, exec, s[26:27]
	v_add_u32_e32 v6, 1, v6
	v_cmp_ge_i32_e32 vcc, v6, v4
	s_orn2_b64 s[26:27], vcc, exec
.LBB34_37:                              ;   in Loop: Header=BB34_38 Depth=1
	s_or_b64 exec, exec, s[2:3]
	s_and_b64 s[2:3], exec, s[26:27]
	s_or_b64 s[18:19], s[2:3], s[18:19]
	s_andn2_b64 exec, exec, s[18:19]
	s_cbranch_execz .LBB34_64
.LBB34_38:                              ; =>This Loop Header: Depth=1
                                        ;     Child Loop BB34_39 Depth 2
                                        ;     Child Loop BB34_44 Depth 2
                                        ;       Child Loop BB34_53 Depth 3
	v_ashrrev_i32_e32 v7, 31, v6
	v_lshl_add_u64 v[8:9], v[6:7], 2, s[10:11]
	global_load_dword v12, v[8:9], off
	v_lshl_add_u64 v[10:11], v[6:7], 3, s[12:13]
	global_load_dwordx2 v[8:9], v[10:11], off
	s_mov_b64 s[2:3], 0
	s_waitcnt vmcnt(1)
	v_subrev_u32_e32 v12, s34, v12
	v_ashrrev_i32_e32 v13, 31, v12
	v_lshlrev_b64 v[12:13], 2, v[12:13]
	v_lshl_add_u64 v[20:21], s[8:9], 0, v[12:13]
	v_lshl_add_u64 v[22:23], s[14:15], 0, v[12:13]
	global_load_dword v7, v[20:21], off offset:4
	global_load_dword v14, v[22:23], off
	v_lshl_add_u64 v[12:13], s[16:17], 0, v[12:13]
.LBB34_39:                              ;   Parent Loop BB34_38 Depth=1
                                        ; =>  This Inner Loop Header: Depth=2
	global_load_dword v15, v[12:13], off sc1
	s_waitcnt vmcnt(0)
	v_cmp_ne_u32_e32 vcc, 0, v15
	s_or_b64 s[2:3], vcc, s[2:3]
	s_andn2_b64 exec, exec, s[2:3]
	s_cbranch_execnz .LBB34_39
; %bb.40:                               ;   in Loop: Header=BB34_38 Depth=1
	s_or_b64 exec, exec, s[2:3]
	v_subrev_u32_e32 v7, s34, v7
	v_add_u32_e32 v12, -1, v7
	v_cmp_eq_u32_e32 vcc, -1, v14
	buffer_inv sc1
	s_mov_b64 s[26:27], -1
	v_cndmask_b32_e32 v12, v14, v12, vcc
	v_ashrrev_i32_e32 v13, 31, v12
	v_lshl_add_u64 v[14:15], v[12:13], 3, s[12:13]
	global_load_dwordx2 v[14:15], v[14:15], off
	s_waitcnt vmcnt(0)
	v_cmp_neq_f32_e32 vcc, 0, v14
	v_cmp_neq_f32_e64 s[2:3], 0, v15
	s_or_b64 s[28:29], vcc, s[2:3]
	s_and_saveexec_b64 s[2:3], s[28:29]
	s_cbranch_execz .LBB34_37
; %bb.41:                               ;   in Loop: Header=BB34_38 Depth=1
	v_mul_f32_e32 v13, v15, v15
	v_fmac_f32_e32 v13, v14, v14
	v_div_scale_f32 v20, s[26:27], v13, v13, 1.0
	v_rcp_f32_e32 v21, v20
	v_div_scale_f32 v22, vcc, 1.0, v13, 1.0
	v_fma_f32 v23, -v20, v21, 1.0
	v_fmac_f32_e32 v21, v23, v21
	v_mul_f32_e32 v23, v22, v21
	v_fma_f32 v24, -v20, v23, v22
	v_fmac_f32_e32 v23, v24, v21
	v_fma_f32 v20, -v20, v23, v22
	v_div_fmas_f32 v20, v20, v21, v23
	v_xor_b32_e32 v23, 0x80000000, v8
	v_mov_b32_e32 v22, v9
	v_mov_b32_e32 v24, v15
	v_pk_mul_f32 v[22:23], v[22:23], v[24:25] op_sel_hi:[1,0]
	v_div_fixup_f32 v20, v20, v13, 1.0
	v_pk_fma_f32 v[8:9], v[8:9], v[14:15], v[22:23] op_sel_hi:[1,0,1]
	s_nop 0
	v_pk_mul_f32 v[8:9], v[8:9], v[20:21] op_sel_hi:[1,0]
	global_store_dwordx2 v[10:11], v[8:9], off
	v_add_u32_e32 v10, v19, v12
	v_cmp_lt_i32_e32 vcc, v10, v7
	s_and_saveexec_b64 s[26:27], vcc
	s_cbranch_execz .LBB34_36
; %bb.42:                               ;   in Loop: Header=BB34_38 Depth=1
	v_pk_add_f32 v[12:13], v[8:9], 0 neg_lo:[1,1] neg_hi:[1,1]
	s_mov_b64 s[28:29], 0
	v_pk_mov_b32 v[12:13], v[8:9], v[12:13] op_sel:[1,0]
	s_branch .LBB34_44
.LBB34_43:                              ;   in Loop: Header=BB34_44 Depth=2
	s_or_b64 exec, exec, s[30:31]
	v_add_u32_e32 v10, 64, v10
	v_cmp_ge_i32_e32 vcc, v10, v7
	s_or_b64 s[28:29], vcc, s[28:29]
	s_andn2_b64 exec, exec, s[28:29]
	s_cbranch_execz .LBB34_36
.LBB34_44:                              ;   Parent Loop BB34_38 Depth=1
                                        ; =>  This Loop Header: Depth=2
                                        ;       Child Loop BB34_53 Depth 3
	v_ashrrev_i32_e32 v11, 31, v10
	v_lshl_add_u64 v[14:15], v[10:11], 2, s[10:11]
	global_load_dword v14, v[14:15], off
	v_mov_b32_e32 v15, 0x80
	s_mov_b64 s[36:37], 0
                                        ; implicit-def: $sgpr30_sgpr31
                                        ; implicit-def: $sgpr38_sgpr39
                                        ; implicit-def: $sgpr40_sgpr41
	s_waitcnt vmcnt(0)
	v_mul_lo_u32 v21, v14, s62
	s_branch .LBB34_53
.LBB34_45:                              ;   in Loop: Header=BB34_53 Depth=3
	s_or_b64 exec, exec, s[60:61]
	s_orn2_b64 s[56:57], s[56:57], exec
	s_orn2_b64 s[58:59], s[58:59], exec
.LBB34_46:                              ;   in Loop: Header=BB34_53 Depth=3
	s_or_b64 exec, exec, s[54:55]
	s_and_b64 s[56:57], s[56:57], exec
	s_orn2_b64 s[54:55], s[58:59], exec
.LBB34_47:                              ;   in Loop: Header=BB34_53 Depth=3
	s_or_b64 exec, exec, s[52:53]
	s_orn2_b64 s[56:57], s[56:57], exec
	s_orn2_b64 s[52:53], s[54:55], exec
.LBB34_48:                              ;   in Loop: Header=BB34_53 Depth=3
	s_or_b64 exec, exec, s[50:51]
	s_and_b64 s[54:55], s[56:57], exec
	s_orn2_b64 s[50:51], s[52:53], exec
.LBB34_49:                              ;   in Loop: Header=BB34_53 Depth=3
	s_or_b64 exec, exec, s[48:49]
	s_orn2_b64 s[48:49], s[54:55], exec
	s_orn2_b64 s[50:51], s[50:51], exec
.LBB34_50:                              ;   in Loop: Header=BB34_53 Depth=3
	s_or_b64 exec, exec, s[46:47]
	s_and_b64 s[48:49], s[48:49], exec
	s_orn2_b64 s[46:47], s[50:51], exec
.LBB34_51:                              ;   in Loop: Header=BB34_53 Depth=3
	s_or_b64 exec, exec, s[44:45]
	s_andn2_b64 s[40:41], s[40:41], exec
	s_and_b64 s[44:45], s[48:49], exec
	s_or_b64 s[40:41], s[40:41], s[44:45]
	s_andn2_b64 s[38:39], s[38:39], exec
	s_and_b64 s[44:45], s[46:47], exec
	s_or_b64 s[38:39], s[38:39], s[44:45]
.LBB34_52:                              ;   in Loop: Header=BB34_53 Depth=3
	s_or_b64 exec, exec, s[42:43]
	s_and_b64 s[42:43], exec, s[38:39]
	s_or_b64 s[36:37], s[42:43], s[36:37]
	s_andn2_b64 s[30:31], s[30:31], exec
	s_and_b64 s[42:43], s[40:41], exec
	s_or_b64 s[30:31], s[30:31], s[42:43]
	s_andn2_b64 exec, exec, s[36:37]
	s_cbranch_execz .LBB34_62
.LBB34_53:                              ;   Parent Loop BB34_38 Depth=1
                                        ;     Parent Loop BB34_44 Depth=2
                                        ; =>    This Inner Loop Header: Depth=3
	v_and_b32_e32 v20, 0x7f, v21
	v_lshl_add_u32 v22, v20, 2, v5
	ds_read_b32 v22, v22
	s_or_b64 s[40:41], s[40:41], exec
	s_or_b64 s[38:39], s[38:39], exec
	s_waitcnt lgkmcnt(0)
	v_cmp_ne_u32_e32 vcc, -1, v22
	s_and_saveexec_b64 s[42:43], vcc
	s_cbranch_execz .LBB34_52
; %bb.54:                               ;   in Loop: Header=BB34_53 Depth=3
	v_cmp_ne_u32_e32 vcc, v22, v14
	s_mov_b64 s[46:47], -1
	s_mov_b64 s[48:49], 0
	s_and_saveexec_b64 s[44:45], vcc
	s_cbranch_execz .LBB34_51
; %bb.55:                               ;   in Loop: Header=BB34_53 Depth=3
	v_add_u32_e32 v20, 1, v21
	v_and_b32_e32 v20, 0x7f, v20
	v_lshl_add_u32 v22, v20, 2, v5
	ds_read_b32 v22, v22
	s_mov_b64 s[50:51], -1
	s_mov_b64 s[48:49], -1
	s_waitcnt lgkmcnt(0)
	v_cmp_ne_u32_e32 vcc, -1, v22
	s_and_saveexec_b64 s[46:47], vcc
	s_cbranch_execz .LBB34_50
; %bb.56:                               ;   in Loop: Header=BB34_53 Depth=3
	v_cmp_ne_u32_e32 vcc, v22, v14
	s_mov_b64 s[54:55], 0
	s_and_saveexec_b64 s[48:49], vcc
	s_cbranch_execz .LBB34_49
; %bb.57:                               ;   in Loop: Header=BB34_53 Depth=3
	v_add_u32_e32 v20, 2, v21
	v_and_b32_e32 v20, 0x7f, v20
	v_lshl_add_u32 v22, v20, 2, v5
	ds_read_b32 v22, v22
	s_mov_b64 s[52:53], -1
	s_mov_b64 s[56:57], -1
	s_waitcnt lgkmcnt(0)
	v_cmp_ne_u32_e32 vcc, -1, v22
	s_and_saveexec_b64 s[50:51], vcc
	s_cbranch_execz .LBB34_48
; %bb.58:                               ;   in Loop: Header=BB34_53 Depth=3
	v_cmp_ne_u32_e32 vcc, v22, v14
	s_mov_b64 s[54:55], -1
	s_mov_b64 s[56:57], 0
	s_and_saveexec_b64 s[52:53], vcc
	s_cbranch_execz .LBB34_47
; %bb.59:                               ;   in Loop: Header=BB34_53 Depth=3
	v_add_u32_e32 v20, 3, v21
	v_and_b32_e32 v20, 0x7f, v20
	v_lshl_add_u32 v21, v20, 2, v5
	ds_read_b32 v22, v21
	s_mov_b64 s[58:59], -1
	s_mov_b64 s[56:57], -1
                                        ; implicit-def: $vgpr21
	s_waitcnt lgkmcnt(0)
	v_cmp_ne_u32_e32 vcc, -1, v22
	s_and_saveexec_b64 s[54:55], vcc
	s_cbranch_execz .LBB34_46
; %bb.60:                               ;   in Loop: Header=BB34_53 Depth=3
	v_cmp_ne_u32_e32 vcc, v22, v14
	s_mov_b64 s[56:57], 0
                                        ; implicit-def: $vgpr21
	s_and_saveexec_b64 s[60:61], vcc
	s_cbranch_execz .LBB34_45
; %bb.61:                               ;   in Loop: Header=BB34_53 Depth=3
	v_add_u32_e32 v15, -4, v15
	v_cmp_eq_u32_e32 vcc, 0, v15
	s_mov_b64 s[56:57], exec
	v_add_u32_e32 v21, 1, v20
	s_orn2_b64 s[58:59], vcc, exec
	s_branch .LBB34_45
.LBB34_62:                              ;   in Loop: Header=BB34_44 Depth=2
	s_or_b64 exec, exec, s[36:37]
	s_xor_b64 s[30:31], s[30:31], -1
	s_and_saveexec_b64 s[36:37], s[30:31]
	s_xor_b64 s[30:31], exec, s[36:37]
	s_cbranch_execz .LBB34_43
; %bb.63:                               ;   in Loop: Header=BB34_44 Depth=2
	v_lshl_add_u32 v14, v20, 2, v18
	ds_read_b32 v14, v14
	v_lshl_add_u64 v[20:21], v[10:11], 3, s[12:13]
	s_waitcnt lgkmcnt(0)
	v_ashrrev_i32_e32 v15, 31, v14
	v_lshl_add_u64 v[14:15], v[14:15], 3, s[12:13]
	global_load_dwordx2 v[22:23], v[20:21], off
	global_load_dwordx2 v[24:25], v[14:15], off
	s_waitcnt vmcnt(0)
	v_pk_fma_f32 v[20:21], v[8:9], v[22:23], v[24:25] op_sel_hi:[1,0,1] neg_lo:[1,0,0] neg_hi:[1,0,0]
	s_nop 0
	v_pk_fma_f32 v[20:21], v[12:13], v[22:23], v[20:21] op_sel:[0,1,0]
	global_store_dwordx2 v[14:15], v[20:21], off
	s_branch .LBB34_43
.LBB34_64:
	s_or_b64 exec, exec, s[4:5]
	v_cmp_lt_i32_e32 vcc, -1, v4
	s_and_saveexec_b64 s[8:9], vcc
	s_cbranch_execz .LBB34_86
; %bb.65:
	v_mov_b32_e32 v5, 0
	v_lshl_add_u64 v[8:9], v[4:5], 3, s[12:13]
	global_load_dwordx2 v[6:7], v[8:9], off
	s_waitcnt vmcnt(0)
	v_cmp_gt_f32_e32 vcc, 0, v6
	s_nop 1
	v_cndmask_b32_e64 v4, v6, -v6, vcc
	v_cmp_gt_f32_e32 vcc, 0, v7
	s_nop 1
	v_cndmask_b32_e64 v10, v7, -v7, vcc
	v_cmp_ngt_f32_e32 vcc, v4, v10
	s_and_saveexec_b64 s[2:3], vcc
	s_xor_b64 s[4:5], exec, s[2:3]
	s_cbranch_execz .LBB34_69
; %bb.66:
	v_cmp_neq_f32_e32 vcc, 0, v7
	s_and_saveexec_b64 s[10:11], vcc
	s_cbranch_execz .LBB34_68
; %bb.67:
	v_div_scale_f32 v5, s[2:3], v10, v10, v4
	v_rcp_f32_e32 v11, v5
	v_div_scale_f32 v12, vcc, v4, v10, v4
	s_mov_b32 s2, 0xf800000
	v_fma_f32 v13, -v5, v11, 1.0
	v_fmac_f32_e32 v11, v13, v11
	v_mul_f32_e32 v13, v12, v11
	v_fma_f32 v14, -v5, v13, v12
	v_fmac_f32_e32 v13, v14, v11
	v_fma_f32 v5, -v5, v13, v12
	v_div_fmas_f32 v5, v5, v11, v13
	v_div_fixup_f32 v4, v5, v10, v4
	v_fma_f32 v4, v4, v4, 1.0
	v_mul_f32_e32 v5, 0x4f800000, v4
	v_cmp_gt_f32_e32 vcc, s2, v4
	s_nop 1
	v_cndmask_b32_e32 v4, v4, v5, vcc
	v_sqrt_f32_e32 v5, v4
	s_nop 0
	v_add_u32_e32 v11, -1, v5
	v_fma_f32 v12, -v11, v5, v4
	v_cmp_ge_f32_e64 s[2:3], 0, v12
	v_add_u32_e32 v12, 1, v5
	s_nop 0
	v_cndmask_b32_e64 v11, v5, v11, s[2:3]
	v_fma_f32 v5, -v12, v5, v4
	v_cmp_lt_f32_e64 s[2:3], 0, v5
	s_nop 1
	v_cndmask_b32_e64 v5, v11, v12, s[2:3]
	v_mul_f32_e32 v11, 0x37800000, v5
	v_cndmask_b32_e32 v5, v5, v11, vcc
	v_mov_b32_e32 v11, 0x260
	v_cmp_class_f32_e32 vcc, v4, v11
	s_nop 1
	v_cndmask_b32_e32 v4, v5, v4, vcc
	v_mul_f32_e32 v5, v10, v4
.LBB34_68:
	s_or_b64 exec, exec, s[10:11]
                                        ; implicit-def: $vgpr4
                                        ; implicit-def: $vgpr10
.LBB34_69:
	s_andn2_saveexec_b64 s[4:5], s[4:5]
	s_cbranch_execz .LBB34_71
; %bb.70:
	v_div_scale_f32 v5, s[2:3], v4, v4, v10
	v_rcp_f32_e32 v11, v5
	v_div_scale_f32 v12, vcc, v10, v4, v10
	s_mov_b32 s2, 0xf800000
	v_fma_f32 v13, -v5, v11, 1.0
	v_fmac_f32_e32 v11, v13, v11
	v_mul_f32_e32 v13, v12, v11
	v_fma_f32 v14, -v5, v13, v12
	v_fmac_f32_e32 v13, v14, v11
	v_fma_f32 v5, -v5, v13, v12
	v_div_fmas_f32 v5, v5, v11, v13
	v_div_fixup_f32 v5, v5, v4, v10
	v_fma_f32 v5, v5, v5, 1.0
	v_mul_f32_e32 v10, 0x4f800000, v5
	v_cmp_gt_f32_e32 vcc, s2, v5
	s_nop 1
	v_cndmask_b32_e32 v5, v5, v10, vcc
	v_sqrt_f32_e32 v10, v5
	s_nop 0
	v_add_u32_e32 v11, -1, v10
	v_fma_f32 v12, -v11, v10, v5
	v_cmp_ge_f32_e64 s[2:3], 0, v12
	v_add_u32_e32 v12, 1, v10
	s_nop 0
	v_cndmask_b32_e64 v11, v10, v11, s[2:3]
	v_fma_f32 v10, -v12, v10, v5
	v_cmp_lt_f32_e64 s[2:3], 0, v10
	s_nop 1
	v_cndmask_b32_e64 v10, v11, v12, s[2:3]
	v_mul_f32_e32 v11, 0x37800000, v10
	v_cndmask_b32_e32 v10, v10, v11, vcc
	v_mov_b32_e32 v11, 0x260
	v_cmp_class_f32_e32 vcc, v5, v11
	s_nop 1
	v_cndmask_b32_e32 v5, v10, v5, vcc
	v_mul_f32_e32 v5, v4, v5
.LBB34_71:
	s_or_b64 exec, exec, s[4:5]
	v_cvt_f64_f32_e32 v[4:5], v5
	v_cmp_eq_u32_e64 s[4:5], 0, v16
	s_and_b64 vcc, exec, s[6:7]
	s_mov_b64 s[2:3], -1
	s_cbranch_vccnz .LBB34_75
; %bb.72:
	s_cmp_eq_u64 s[24:25], 8
	v_cvt_f64_f32_e32 v[10:11], v17
	s_cselect_b64 vcc, -1, 0
	v_cndmask_b32_e32 v3, v11, v3, vcc
	v_cndmask_b32_e32 v2, v10, v2, vcc
	v_cmp_ge_f64_e32 vcc, v[2:3], v[4:5]
	s_and_b64 s[6:7], s[4:5], vcc
	s_and_saveexec_b64 s[2:3], s[6:7]
	s_cbranch_execz .LBB34_74
; %bb.73:
	v_mov_b32_e32 v2, s33
	v_mov_b32_e32 v3, s35
	global_store_dwordx2 v[8:9], v[2:3], off
	buffer_wbl2 sc1
	s_waitcnt vmcnt(0)
	buffer_inv sc1
.LBB34_74:
	s_or_b64 exec, exec, s[2:3]
	s_mov_b64 s[2:3], 0
.LBB34_75:
	s_andn2_b64 vcc, exec, s[2:3]
	s_cbranch_vccnz .LBB34_86
; %bb.76:
	s_load_dwordx2 s[0:1], s[0:1], 0x48
	v_add_u32_e32 v2, s34, v0
	s_waitcnt lgkmcnt(0)
	v_cmp_ge_f64_e32 vcc, s[0:1], v[4:5]
	s_and_b64 s[2:3], s[4:5], vcc
	s_and_saveexec_b64 s[0:1], s[2:3]
	s_cbranch_execz .LBB34_81
; %bb.77:
	s_mov_b64 s[2:3], exec
	s_brev_b32 s6, -2
.LBB34_78:                              ; =>This Inner Loop Header: Depth=1
	s_ff1_i32_b64 s7, s[2:3]
	v_readlane_b32 s12, v2, s7
	s_lshl_b64 s[10:11], 1, s7
	s_min_i32 s6, s6, s12
	s_andn2_b64 s[2:3], s[2:3], s[10:11]
	s_cmp_lg_u64 s[2:3], 0
	s_cbranch_scc1 .LBB34_78
; %bb.79:
	v_mbcnt_lo_u32_b32 v3, exec_lo, 0
	v_mbcnt_hi_u32_b32 v3, exec_hi, v3
	v_cmp_eq_u32_e32 vcc, 0, v3
	s_and_saveexec_b64 s[2:3], vcc
	s_xor_b64 s[2:3], exec, s[2:3]
	s_cbranch_execz .LBB34_81
; %bb.80:
	v_mov_b32_e32 v3, 0
	v_mov_b32_e32 v4, s6
	global_atomic_smin v3, v4, s[22:23]
.LBB34_81:
	s_or_b64 exec, exec, s[0:1]
	v_cmp_eq_f32_e32 vcc, 0, v6
	v_cmp_eq_f32_e64 s[0:1], 0, v7
	s_and_b64 s[0:1], vcc, s[0:1]
	s_and_b64 s[0:1], s[4:5], s[0:1]
	s_and_b64 exec, exec, s[0:1]
	s_cbranch_execz .LBB34_86
; %bb.82:
	s_mov_b64 s[0:1], exec
	s_brev_b32 s2, -2
.LBB34_83:                              ; =>This Inner Loop Header: Depth=1
	s_ff1_i32_b64 s3, s[0:1]
	v_readlane_b32 s6, v2, s3
	s_lshl_b64 s[4:5], 1, s3
	s_min_i32 s2, s2, s6
	s_andn2_b64 s[0:1], s[0:1], s[4:5]
	s_cmp_lg_u64 s[0:1], 0
	s_cbranch_scc1 .LBB34_83
; %bb.84:
	v_mbcnt_lo_u32_b32 v2, exec_lo, 0
	v_mbcnt_hi_u32_b32 v2, exec_hi, v2
	v_cmp_eq_u32_e32 vcc, 0, v2
	s_and_saveexec_b64 s[0:1], vcc
	s_xor_b64 s[0:1], exec, s[0:1]
	s_cbranch_execz .LBB34_86
; %bb.85:
	v_mov_b32_e32 v2, 0
	v_mov_b32_e32 v3, s2
	global_atomic_smin v2, v3, s[20:21]
.LBB34_86:
	s_or_b64 exec, exec, s[8:9]
	v_cmp_eq_u32_e32 vcc, 0, v16
	buffer_wbl2 sc1
	s_waitcnt vmcnt(0)
	buffer_inv sc1
	s_and_b64 exec, exec, vcc
	s_cbranch_execz .LBB34_88
; %bb.87:
	v_lshl_add_u64 v[0:1], v[0:1], 2, s[16:17]
	v_mov_b32_e32 v2, 1
	buffer_wbl2 sc1
	global_store_dword v[0:1], v2, off sc1
.LBB34_88:
	s_endpgm
	.section	.rodata,"a",@progbits
	.p2align	6, 0x0
	.amdhsa_kernel _ZN9rocsparseL12csrilu0_hashILj256ELj64ELj2E21rocsparse_complex_numIfEEEviPKiS4_PT2_S4_PiS4_S7_S7_d21rocsparse_index_base_imNS_24const_host_device_scalarIfEENS9_IdEENS9_IS5_EEb
		.amdhsa_group_segment_fixed_size 4096
		.amdhsa_private_segment_fixed_size 0
		.amdhsa_kernarg_size 124
		.amdhsa_user_sgpr_count 2
		.amdhsa_user_sgpr_dispatch_ptr 0
		.amdhsa_user_sgpr_queue_ptr 0
		.amdhsa_user_sgpr_kernarg_segment_ptr 1
		.amdhsa_user_sgpr_dispatch_id 0
		.amdhsa_user_sgpr_kernarg_preload_length 0
		.amdhsa_user_sgpr_kernarg_preload_offset 0
		.amdhsa_user_sgpr_private_segment_size 0
		.amdhsa_uses_dynamic_stack 0
		.amdhsa_enable_private_segment 0
		.amdhsa_system_sgpr_workgroup_id_x 1
		.amdhsa_system_sgpr_workgroup_id_y 0
		.amdhsa_system_sgpr_workgroup_id_z 0
		.amdhsa_system_sgpr_workgroup_info 0
		.amdhsa_system_vgpr_workitem_id 0
		.amdhsa_next_free_vgpr 26
		.amdhsa_next_free_sgpr 63
		.amdhsa_accum_offset 28
		.amdhsa_reserve_vcc 1
		.amdhsa_float_round_mode_32 0
		.amdhsa_float_round_mode_16_64 0
		.amdhsa_float_denorm_mode_32 3
		.amdhsa_float_denorm_mode_16_64 3
		.amdhsa_dx10_clamp 1
		.amdhsa_ieee_mode 1
		.amdhsa_fp16_overflow 0
		.amdhsa_tg_split 0
		.amdhsa_exception_fp_ieee_invalid_op 0
		.amdhsa_exception_fp_denorm_src 0
		.amdhsa_exception_fp_ieee_div_zero 0
		.amdhsa_exception_fp_ieee_overflow 0
		.amdhsa_exception_fp_ieee_underflow 0
		.amdhsa_exception_fp_ieee_inexact 0
		.amdhsa_exception_int_div_zero 0
	.end_amdhsa_kernel
	.section	.text._ZN9rocsparseL12csrilu0_hashILj256ELj64ELj2E21rocsparse_complex_numIfEEEviPKiS4_PT2_S4_PiS4_S7_S7_d21rocsparse_index_base_imNS_24const_host_device_scalarIfEENS9_IdEENS9_IS5_EEb,"axG",@progbits,_ZN9rocsparseL12csrilu0_hashILj256ELj64ELj2E21rocsparse_complex_numIfEEEviPKiS4_PT2_S4_PiS4_S7_S7_d21rocsparse_index_base_imNS_24const_host_device_scalarIfEENS9_IdEENS9_IS5_EEb,comdat
.Lfunc_end34:
	.size	_ZN9rocsparseL12csrilu0_hashILj256ELj64ELj2E21rocsparse_complex_numIfEEEviPKiS4_PT2_S4_PiS4_S7_S7_d21rocsparse_index_base_imNS_24const_host_device_scalarIfEENS9_IdEENS9_IS5_EEb, .Lfunc_end34-_ZN9rocsparseL12csrilu0_hashILj256ELj64ELj2E21rocsparse_complex_numIfEEEviPKiS4_PT2_S4_PiS4_S7_S7_d21rocsparse_index_base_imNS_24const_host_device_scalarIfEENS9_IdEENS9_IS5_EEb
                                        ; -- End function
	.set _ZN9rocsparseL12csrilu0_hashILj256ELj64ELj2E21rocsparse_complex_numIfEEEviPKiS4_PT2_S4_PiS4_S7_S7_d21rocsparse_index_base_imNS_24const_host_device_scalarIfEENS9_IdEENS9_IS5_EEb.num_vgpr, 26
	.set _ZN9rocsparseL12csrilu0_hashILj256ELj64ELj2E21rocsparse_complex_numIfEEEviPKiS4_PT2_S4_PiS4_S7_S7_d21rocsparse_index_base_imNS_24const_host_device_scalarIfEENS9_IdEENS9_IS5_EEb.num_agpr, 0
	.set _ZN9rocsparseL12csrilu0_hashILj256ELj64ELj2E21rocsparse_complex_numIfEEEviPKiS4_PT2_S4_PiS4_S7_S7_d21rocsparse_index_base_imNS_24const_host_device_scalarIfEENS9_IdEENS9_IS5_EEb.numbered_sgpr, 63
	.set _ZN9rocsparseL12csrilu0_hashILj256ELj64ELj2E21rocsparse_complex_numIfEEEviPKiS4_PT2_S4_PiS4_S7_S7_d21rocsparse_index_base_imNS_24const_host_device_scalarIfEENS9_IdEENS9_IS5_EEb.num_named_barrier, 0
	.set _ZN9rocsparseL12csrilu0_hashILj256ELj64ELj2E21rocsparse_complex_numIfEEEviPKiS4_PT2_S4_PiS4_S7_S7_d21rocsparse_index_base_imNS_24const_host_device_scalarIfEENS9_IdEENS9_IS5_EEb.private_seg_size, 0
	.set _ZN9rocsparseL12csrilu0_hashILj256ELj64ELj2E21rocsparse_complex_numIfEEEviPKiS4_PT2_S4_PiS4_S7_S7_d21rocsparse_index_base_imNS_24const_host_device_scalarIfEENS9_IdEENS9_IS5_EEb.uses_vcc, 1
	.set _ZN9rocsparseL12csrilu0_hashILj256ELj64ELj2E21rocsparse_complex_numIfEEEviPKiS4_PT2_S4_PiS4_S7_S7_d21rocsparse_index_base_imNS_24const_host_device_scalarIfEENS9_IdEENS9_IS5_EEb.uses_flat_scratch, 0
	.set _ZN9rocsparseL12csrilu0_hashILj256ELj64ELj2E21rocsparse_complex_numIfEEEviPKiS4_PT2_S4_PiS4_S7_S7_d21rocsparse_index_base_imNS_24const_host_device_scalarIfEENS9_IdEENS9_IS5_EEb.has_dyn_sized_stack, 0
	.set _ZN9rocsparseL12csrilu0_hashILj256ELj64ELj2E21rocsparse_complex_numIfEEEviPKiS4_PT2_S4_PiS4_S7_S7_d21rocsparse_index_base_imNS_24const_host_device_scalarIfEENS9_IdEENS9_IS5_EEb.has_recursion, 0
	.set _ZN9rocsparseL12csrilu0_hashILj256ELj64ELj2E21rocsparse_complex_numIfEEEviPKiS4_PT2_S4_PiS4_S7_S7_d21rocsparse_index_base_imNS_24const_host_device_scalarIfEENS9_IdEENS9_IS5_EEb.has_indirect_call, 0
	.section	.AMDGPU.csdata,"",@progbits
; Kernel info:
; codeLenInByte = 3100
; TotalNumSgprs: 69
; NumVgprs: 26
; NumAgprs: 0
; TotalNumVgprs: 26
; ScratchSize: 0
; MemoryBound: 0
; FloatMode: 240
; IeeeMode: 1
; LDSByteSize: 4096 bytes/workgroup (compile time only)
; SGPRBlocks: 8
; VGPRBlocks: 3
; NumSGPRsForWavesPerEU: 69
; NumVGPRsForWavesPerEU: 26
; AccumOffset: 28
; Occupancy: 8
; WaveLimiterHint : 1
; COMPUTE_PGM_RSRC2:SCRATCH_EN: 0
; COMPUTE_PGM_RSRC2:USER_SGPR: 2
; COMPUTE_PGM_RSRC2:TRAP_HANDLER: 0
; COMPUTE_PGM_RSRC2:TGID_X_EN: 1
; COMPUTE_PGM_RSRC2:TGID_Y_EN: 0
; COMPUTE_PGM_RSRC2:TGID_Z_EN: 0
; COMPUTE_PGM_RSRC2:TIDIG_COMP_CNT: 0
; COMPUTE_PGM_RSRC3_GFX90A:ACCUM_OFFSET: 6
; COMPUTE_PGM_RSRC3_GFX90A:TG_SPLIT: 0
	.section	.text._ZN9rocsparseL12csrilu0_hashILj256ELj64ELj4E21rocsparse_complex_numIfEEEviPKiS4_PT2_S4_PiS4_S7_S7_d21rocsparse_index_base_imNS_24const_host_device_scalarIfEENS9_IdEENS9_IS5_EEb,"axG",@progbits,_ZN9rocsparseL12csrilu0_hashILj256ELj64ELj4E21rocsparse_complex_numIfEEEviPKiS4_PT2_S4_PiS4_S7_S7_d21rocsparse_index_base_imNS_24const_host_device_scalarIfEENS9_IdEENS9_IS5_EEb,comdat
	.globl	_ZN9rocsparseL12csrilu0_hashILj256ELj64ELj4E21rocsparse_complex_numIfEEEviPKiS4_PT2_S4_PiS4_S7_S7_d21rocsparse_index_base_imNS_24const_host_device_scalarIfEENS9_IdEENS9_IS5_EEb ; -- Begin function _ZN9rocsparseL12csrilu0_hashILj256ELj64ELj4E21rocsparse_complex_numIfEEEviPKiS4_PT2_S4_PiS4_S7_S7_d21rocsparse_index_base_imNS_24const_host_device_scalarIfEENS9_IdEENS9_IS5_EEb
	.p2align	8
	.type	_ZN9rocsparseL12csrilu0_hashILj256ELj64ELj4E21rocsparse_complex_numIfEEEviPKiS4_PT2_S4_PiS4_S7_S7_d21rocsparse_index_base_imNS_24const_host_device_scalarIfEENS9_IdEENS9_IS5_EEb,@function
_ZN9rocsparseL12csrilu0_hashILj256ELj64ELj4E21rocsparse_complex_numIfEEEviPKiS4_PT2_S4_PiS4_S7_S7_d21rocsparse_index_base_imNS_24const_host_device_scalarIfEENS9_IdEENS9_IS5_EEb: ; @_ZN9rocsparseL12csrilu0_hashILj256ELj64ELj4E21rocsparse_complex_numIfEEEviPKiS4_PT2_S4_PiS4_S7_S7_d21rocsparse_index_base_imNS_24const_host_device_scalarIfEENS9_IdEENS9_IS5_EEb
; %bb.0:
	s_load_dword s3, s[0:1], 0x78
	s_load_dwordx2 s[34:35], s[0:1], 0x50
	s_load_dwordx8 s[24:31], s[0:1], 0x58
	s_waitcnt lgkmcnt(0)
	s_bitcmp1_b32 s3, 0
	s_cselect_b64 s[4:5], -1, 0
	s_cmp_eq_u32 s35, 0
	s_cselect_b64 s[12:13], -1, 0
	s_cmp_lg_u32 s35, 0
	s_cselect_b64 s[8:9], -1, 0
	s_or_b64 s[14:15], s[12:13], s[4:5]
	s_xor_b64 s[6:7], s[14:15], -1
	s_and_b64 s[10:11], s[12:13], exec
	s_cselect_b32 s11, 0, s29
	s_cselect_b32 s10, 0, s28
	s_and_b64 vcc, exec, s[14:15]
	s_cbranch_vccnz .LBB35_2
; %bb.1:
	s_load_dword s3, s[26:27], 0x0
	s_mov_b64 s[10:11], s[28:29]
	s_waitcnt lgkmcnt(0)
	v_mov_b32_e32 v17, s3
	s_andn2_b64 vcc, exec, s[6:7]
	v_mov_b64_e32 v[2:3], s[10:11]
	s_cbranch_vccz .LBB35_3
	s_branch .LBB35_4
.LBB35_2:
	v_mov_b32_e32 v1, s26
	v_cndmask_b32_e64 v17, v1, 0, s[12:13]
	s_andn2_b64 vcc, exec, s[6:7]
	v_mov_b64_e32 v[2:3], s[10:11]
	s_cbranch_vccnz .LBB35_4
.LBB35_3:
	v_mov_b64_e32 v[2:3], s[28:29]
	flat_load_dwordx2 v[2:3], v[2:3]
.LBB35_4:
	v_cndmask_b32_e64 v1, 0, 1, s[8:9]
	s_mov_b32 s33, 0
	v_cmp_ne_u32_e64 s[6:7], 1, v1
	s_andn2_b64 vcc, exec, s[8:9]
	s_mov_b32 s35, 0
	s_cbranch_vccnz .LBB35_10
; %bb.5:
	s_xor_b64 s[8:9], s[4:5], -1
	v_cndmask_b32_e64 v1, 0, 1, s[8:9]
	v_cmp_ne_u32_e64 s[4:5], 1, v1
	s_andn2_b64 vcc, exec, s[8:9]
	s_mov_b32 s33, s30
	s_cbranch_vccnz .LBB35_7
; %bb.6:
	s_load_dword s33, s[30:31], 0x0
.LBB35_7:
	s_and_b64 vcc, exec, s[4:5]
	s_cbranch_vccnz .LBB35_9
; %bb.8:
	s_load_dword s31, s[30:31], 0x4
.LBB35_9:
	s_waitcnt lgkmcnt(0)
	s_mov_b32 s35, s31
.LBB35_10:
	s_load_dword s3, s[0:1], 0x0
	v_lshlrev_b32_e32 v1, 2, v0
	s_lshl_b32 s2, s2, 2
	v_and_b32_e32 v16, 63, v0
	v_and_b32_e32 v6, 0x300, v1
	v_mov_b32_e32 v1, 0x1000
	v_lshrrev_b32_e32 v0, 6, v0
	s_and_b32 s2, s2, 0x3fffffc
	v_lshl_or_b32 v5, v6, 2, v1
	v_or_b32_e32 v0, s2, v0
	v_lshl_or_b32 v1, v16, 2, v5
	v_mov_b32_e32 v4, -1
	s_waitcnt lgkmcnt(0)
	v_cmp_gt_i32_e32 vcc, s3, v0
	ds_write2st64_b32 v1, v4, v4 offset1:1
	ds_write2st64_b32 v1, v4, v4 offset0:2 offset1:3
	s_waitcnt lgkmcnt(0)
	s_and_saveexec_b64 s[2:3], vcc
	s_cbranch_execz .LBB35_88
; %bb.11:
	s_load_dwordx16 s[8:23], s[0:1], 0x8
	v_lshlrev_b32_e32 v0, 2, v0
	v_lshlrev_b32_e32 v18, 2, v6
	s_waitcnt lgkmcnt(0)
	global_load_dword v0, v0, s[18:19]
	s_waitcnt vmcnt(0)
	v_ashrrev_i32_e32 v1, 31, v0
	v_lshlrev_b64 v[8:9], 2, v[0:1]
	v_lshl_add_u64 v[10:11], s[8:9], 0, v[8:9]
	global_load_dwordx2 v[10:11], v[10:11], off
	v_lshl_add_u64 v[8:9], s[14:15], 0, v[8:9]
	global_load_dword v4, v[8:9], off
	s_waitcnt vmcnt(1)
	v_subrev_u32_e32 v6, s34, v10
	v_subrev_u32_e32 v7, s34, v11
	v_add_u32_e32 v8, v6, v16
	v_cmp_lt_i32_e32 vcc, v8, v7
	s_and_saveexec_b64 s[2:3], vcc
	s_cbranch_execz .LBB35_34
; %bb.12:
	s_mov_b64 s[4:5], 0
	s_movk_i32 s56, 0x67
	v_mov_b32_e32 v10, -1
	s_branch .LBB35_14
.LBB35_13:                              ;   in Loop: Header=BB35_14 Depth=1
	s_or_b64 exec, exec, s[18:19]
	v_add_u32_e32 v8, 64, v8
	v_cmp_ge_i32_e32 vcc, v8, v7
	s_or_b64 s[4:5], vcc, s[4:5]
	s_andn2_b64 exec, exec, s[4:5]
	s_cbranch_execz .LBB35_34
.LBB35_14:                              ; =>This Loop Header: Depth=1
                                        ;     Child Loop BB35_23 Depth 2
	v_ashrrev_i32_e32 v9, 31, v8
	v_lshl_add_u64 v[12:13], v[8:9], 2, s[10:11]
	global_load_dword v9, v[12:13], off
	v_mov_b32_e32 v11, 0x100
	s_mov_b64 s[26:27], 0
                                        ; implicit-def: $sgpr18_sgpr19
                                        ; implicit-def: $sgpr28_sgpr29
                                        ; implicit-def: $sgpr30_sgpr31
	s_waitcnt vmcnt(0)
	v_mul_lo_u32 v13, v9, s56
	s_branch .LBB35_23
.LBB35_15:                              ;   in Loop: Header=BB35_23 Depth=2
	s_or_b64 exec, exec, s[54:55]
	s_orn2_b64 s[50:51], s[50:51], exec
	s_orn2_b64 s[52:53], s[52:53], exec
.LBB35_16:                              ;   in Loop: Header=BB35_23 Depth=2
	s_or_b64 exec, exec, s[48:49]
	s_and_b64 s[50:51], s[50:51], exec
	s_orn2_b64 s[48:49], s[52:53], exec
.LBB35_17:                              ;   in Loop: Header=BB35_23 Depth=2
	s_or_b64 exec, exec, s[46:47]
	s_orn2_b64 s[50:51], s[50:51], exec
	s_orn2_b64 s[46:47], s[48:49], exec
.LBB35_18:                              ;   in Loop: Header=BB35_23 Depth=2
	s_or_b64 exec, exec, s[44:45]
	s_and_b64 s[48:49], s[50:51], exec
	s_orn2_b64 s[44:45], s[46:47], exec
.LBB35_19:                              ;   in Loop: Header=BB35_23 Depth=2
	s_or_b64 exec, exec, s[42:43]
	s_orn2_b64 s[42:43], s[48:49], exec
	s_orn2_b64 s[44:45], s[44:45], exec
.LBB35_20:                              ;   in Loop: Header=BB35_23 Depth=2
	s_or_b64 exec, exec, s[40:41]
	s_and_b64 s[42:43], s[42:43], exec
	s_orn2_b64 s[40:41], s[44:45], exec
.LBB35_21:                              ;   in Loop: Header=BB35_23 Depth=2
	s_or_b64 exec, exec, s[38:39]
	s_andn2_b64 s[30:31], s[30:31], exec
	s_and_b64 s[38:39], s[42:43], exec
	s_or_b64 s[30:31], s[30:31], s[38:39]
	s_andn2_b64 s[28:29], s[28:29], exec
	s_and_b64 s[38:39], s[40:41], exec
	s_or_b64 s[28:29], s[28:29], s[38:39]
.LBB35_22:                              ;   in Loop: Header=BB35_23 Depth=2
	s_or_b64 exec, exec, s[36:37]
	s_and_b64 s[36:37], exec, s[28:29]
	s_or_b64 s[26:27], s[36:37], s[26:27]
	s_andn2_b64 s[18:19], s[18:19], exec
	s_and_b64 s[36:37], s[30:31], exec
	s_or_b64 s[18:19], s[18:19], s[36:37]
	s_andn2_b64 exec, exec, s[26:27]
	s_cbranch_execz .LBB35_32
.LBB35_23:                              ;   Parent Loop BB35_14 Depth=1
                                        ; =>  This Inner Loop Header: Depth=2
	v_and_b32_e32 v12, 0xff, v13
	v_lshl_add_u32 v14, v12, 2, v5
	ds_read_b32 v15, v14
	s_or_b64 s[30:31], s[30:31], exec
	s_or_b64 s[28:29], s[28:29], exec
	s_waitcnt lgkmcnt(0)
	v_cmp_ne_u32_e32 vcc, v15, v9
	s_and_saveexec_b64 s[36:37], vcc
	s_cbranch_execz .LBB35_22
; %bb.24:                               ;   in Loop: Header=BB35_23 Depth=2
	ds_cmpst_rtn_b32 v14, v14, v10, v9
	s_mov_b64 s[40:41], -1
	s_mov_b64 s[42:43], 0
	s_waitcnt lgkmcnt(0)
	v_cmp_ne_u32_e32 vcc, -1, v14
	s_and_saveexec_b64 s[38:39], vcc
	s_cbranch_execz .LBB35_21
; %bb.25:                               ;   in Loop: Header=BB35_23 Depth=2
	v_add_u32_e32 v12, 1, v13
	v_and_b32_e32 v12, 0xff, v12
	v_lshl_add_u32 v14, v12, 2, v5
	ds_read_b32 v15, v14
	s_mov_b64 s[44:45], -1
	s_mov_b64 s[42:43], -1
	s_waitcnt lgkmcnt(0)
	v_cmp_ne_u32_e32 vcc, v15, v9
	s_and_saveexec_b64 s[40:41], vcc
	s_cbranch_execz .LBB35_20
; %bb.26:                               ;   in Loop: Header=BB35_23 Depth=2
	ds_cmpst_rtn_b32 v14, v14, v10, v9
	s_mov_b64 s[48:49], 0
	s_waitcnt lgkmcnt(0)
	v_cmp_ne_u32_e32 vcc, -1, v14
	s_and_saveexec_b64 s[42:43], vcc
	s_cbranch_execz .LBB35_19
; %bb.27:                               ;   in Loop: Header=BB35_23 Depth=2
	v_add_u32_e32 v12, 2, v13
	v_and_b32_e32 v12, 0xff, v12
	v_lshl_add_u32 v14, v12, 2, v5
	ds_read_b32 v15, v14
	s_mov_b64 s[46:47], -1
	s_mov_b64 s[50:51], -1
	s_waitcnt lgkmcnt(0)
	v_cmp_ne_u32_e32 vcc, v15, v9
	s_and_saveexec_b64 s[44:45], vcc
	s_cbranch_execz .LBB35_18
; %bb.28:                               ;   in Loop: Header=BB35_23 Depth=2
	ds_cmpst_rtn_b32 v14, v14, v10, v9
	s_mov_b64 s[48:49], -1
	s_mov_b64 s[50:51], 0
	s_waitcnt lgkmcnt(0)
	v_cmp_ne_u32_e32 vcc, -1, v14
	s_and_saveexec_b64 s[46:47], vcc
	s_cbranch_execz .LBB35_17
; %bb.29:                               ;   in Loop: Header=BB35_23 Depth=2
	v_add_u32_e32 v12, 3, v13
	v_and_b32_e32 v12, 0xff, v12
	v_lshl_add_u32 v14, v12, 2, v5
	ds_read_b32 v13, v14
	s_mov_b64 s[52:53], -1
	s_mov_b64 s[50:51], -1
	s_waitcnt lgkmcnt(0)
	v_cmp_ne_u32_e32 vcc, v13, v9
                                        ; implicit-def: $vgpr13
	s_and_saveexec_b64 s[48:49], vcc
	s_cbranch_execz .LBB35_16
; %bb.30:                               ;   in Loop: Header=BB35_23 Depth=2
	ds_cmpst_rtn_b32 v13, v14, v10, v9
	s_mov_b64 s[50:51], 0
	s_waitcnt lgkmcnt(0)
	v_cmp_ne_u32_e32 vcc, -1, v13
                                        ; implicit-def: $vgpr13
	s_and_saveexec_b64 s[54:55], vcc
	s_cbranch_execz .LBB35_15
; %bb.31:                               ;   in Loop: Header=BB35_23 Depth=2
	v_add_u32_e32 v11, -4, v11
	v_cmp_eq_u32_e32 vcc, 0, v11
	s_mov_b64 s[50:51], exec
	v_add_u32_e32 v13, 1, v12
	s_orn2_b64 s[52:53], vcc, exec
	s_branch .LBB35_15
.LBB35_32:                              ;   in Loop: Header=BB35_14 Depth=1
	s_or_b64 exec, exec, s[26:27]
	s_xor_b64 s[18:19], s[18:19], -1
	s_and_saveexec_b64 s[26:27], s[18:19]
	s_xor_b64 s[18:19], exec, s[26:27]
	s_cbranch_execz .LBB35_13
; %bb.33:                               ;   in Loop: Header=BB35_14 Depth=1
	v_lshl_add_u32 v9, v12, 2, v18
	ds_write_b32 v9, v8
	s_branch .LBB35_13
.LBB35_34:
	s_or_b64 exec, exec, s[2:3]
	s_waitcnt vmcnt(0)
	v_cmp_lt_i32_e32 vcc, v6, v4
	s_waitcnt lgkmcnt(0)
	s_and_saveexec_b64 s[4:5], vcc
	s_cbranch_execz .LBB35_64
; %bb.35:
	v_add_u32_e32 v19, 1, v16
	s_mov_b64 s[18:19], 0
	s_movk_i32 s62, 0x67
	s_branch .LBB35_38
.LBB35_36:                              ;   in Loop: Header=BB35_38 Depth=1
	s_or_b64 exec, exec, s[26:27]
	v_add_u32_e32 v6, 1, v6
	v_cmp_ge_i32_e32 vcc, v6, v4
	s_orn2_b64 s[26:27], vcc, exec
.LBB35_37:                              ;   in Loop: Header=BB35_38 Depth=1
	s_or_b64 exec, exec, s[2:3]
	s_and_b64 s[2:3], exec, s[26:27]
	s_or_b64 s[18:19], s[2:3], s[18:19]
	s_andn2_b64 exec, exec, s[18:19]
	s_cbranch_execz .LBB35_64
.LBB35_38:                              ; =>This Loop Header: Depth=1
                                        ;     Child Loop BB35_39 Depth 2
                                        ;     Child Loop BB35_44 Depth 2
                                        ;       Child Loop BB35_53 Depth 3
	v_ashrrev_i32_e32 v7, 31, v6
	v_lshl_add_u64 v[8:9], v[6:7], 2, s[10:11]
	global_load_dword v12, v[8:9], off
	v_lshl_add_u64 v[10:11], v[6:7], 3, s[12:13]
	global_load_dwordx2 v[8:9], v[10:11], off
	s_mov_b64 s[2:3], 0
	s_waitcnt vmcnt(1)
	v_subrev_u32_e32 v12, s34, v12
	v_ashrrev_i32_e32 v13, 31, v12
	v_lshlrev_b64 v[12:13], 2, v[12:13]
	v_lshl_add_u64 v[20:21], s[8:9], 0, v[12:13]
	v_lshl_add_u64 v[22:23], s[14:15], 0, v[12:13]
	global_load_dword v7, v[20:21], off offset:4
	global_load_dword v14, v[22:23], off
	v_lshl_add_u64 v[12:13], s[16:17], 0, v[12:13]
.LBB35_39:                              ;   Parent Loop BB35_38 Depth=1
                                        ; =>  This Inner Loop Header: Depth=2
	global_load_dword v15, v[12:13], off sc1
	s_waitcnt vmcnt(0)
	v_cmp_ne_u32_e32 vcc, 0, v15
	s_or_b64 s[2:3], vcc, s[2:3]
	s_andn2_b64 exec, exec, s[2:3]
	s_cbranch_execnz .LBB35_39
; %bb.40:                               ;   in Loop: Header=BB35_38 Depth=1
	s_or_b64 exec, exec, s[2:3]
	v_subrev_u32_e32 v7, s34, v7
	v_add_u32_e32 v12, -1, v7
	v_cmp_eq_u32_e32 vcc, -1, v14
	buffer_inv sc1
	s_mov_b64 s[26:27], -1
	v_cndmask_b32_e32 v12, v14, v12, vcc
	v_ashrrev_i32_e32 v13, 31, v12
	v_lshl_add_u64 v[14:15], v[12:13], 3, s[12:13]
	global_load_dwordx2 v[14:15], v[14:15], off
	s_waitcnt vmcnt(0)
	v_cmp_neq_f32_e32 vcc, 0, v14
	v_cmp_neq_f32_e64 s[2:3], 0, v15
	s_or_b64 s[28:29], vcc, s[2:3]
	s_and_saveexec_b64 s[2:3], s[28:29]
	s_cbranch_execz .LBB35_37
; %bb.41:                               ;   in Loop: Header=BB35_38 Depth=1
	v_mul_f32_e32 v13, v15, v15
	v_fmac_f32_e32 v13, v14, v14
	v_div_scale_f32 v20, s[26:27], v13, v13, 1.0
	v_rcp_f32_e32 v21, v20
	v_div_scale_f32 v22, vcc, 1.0, v13, 1.0
	v_fma_f32 v23, -v20, v21, 1.0
	v_fmac_f32_e32 v21, v23, v21
	v_mul_f32_e32 v23, v22, v21
	v_fma_f32 v24, -v20, v23, v22
	v_fmac_f32_e32 v23, v24, v21
	v_fma_f32 v20, -v20, v23, v22
	v_div_fmas_f32 v20, v20, v21, v23
	v_xor_b32_e32 v23, 0x80000000, v8
	v_mov_b32_e32 v22, v9
	v_mov_b32_e32 v24, v15
	v_pk_mul_f32 v[22:23], v[22:23], v[24:25] op_sel_hi:[1,0]
	v_div_fixup_f32 v20, v20, v13, 1.0
	v_pk_fma_f32 v[8:9], v[8:9], v[14:15], v[22:23] op_sel_hi:[1,0,1]
	s_nop 0
	v_pk_mul_f32 v[8:9], v[8:9], v[20:21] op_sel_hi:[1,0]
	global_store_dwordx2 v[10:11], v[8:9], off
	v_add_u32_e32 v10, v19, v12
	v_cmp_lt_i32_e32 vcc, v10, v7
	s_and_saveexec_b64 s[26:27], vcc
	s_cbranch_execz .LBB35_36
; %bb.42:                               ;   in Loop: Header=BB35_38 Depth=1
	v_pk_add_f32 v[12:13], v[8:9], 0 neg_lo:[1,1] neg_hi:[1,1]
	s_mov_b64 s[28:29], 0
	v_pk_mov_b32 v[12:13], v[8:9], v[12:13] op_sel:[1,0]
	s_branch .LBB35_44
.LBB35_43:                              ;   in Loop: Header=BB35_44 Depth=2
	s_or_b64 exec, exec, s[30:31]
	v_add_u32_e32 v10, 64, v10
	v_cmp_ge_i32_e32 vcc, v10, v7
	s_or_b64 s[28:29], vcc, s[28:29]
	s_andn2_b64 exec, exec, s[28:29]
	s_cbranch_execz .LBB35_36
.LBB35_44:                              ;   Parent Loop BB35_38 Depth=1
                                        ; =>  This Loop Header: Depth=2
                                        ;       Child Loop BB35_53 Depth 3
	v_ashrrev_i32_e32 v11, 31, v10
	v_lshl_add_u64 v[14:15], v[10:11], 2, s[10:11]
	global_load_dword v14, v[14:15], off
	v_mov_b32_e32 v15, 0x100
	s_mov_b64 s[36:37], 0
                                        ; implicit-def: $sgpr30_sgpr31
                                        ; implicit-def: $sgpr38_sgpr39
                                        ; implicit-def: $sgpr40_sgpr41
	s_waitcnt vmcnt(0)
	v_mul_lo_u32 v21, v14, s62
	s_branch .LBB35_53
.LBB35_45:                              ;   in Loop: Header=BB35_53 Depth=3
	s_or_b64 exec, exec, s[60:61]
	s_orn2_b64 s[56:57], s[56:57], exec
	s_orn2_b64 s[58:59], s[58:59], exec
.LBB35_46:                              ;   in Loop: Header=BB35_53 Depth=3
	s_or_b64 exec, exec, s[54:55]
	s_and_b64 s[56:57], s[56:57], exec
	s_orn2_b64 s[54:55], s[58:59], exec
.LBB35_47:                              ;   in Loop: Header=BB35_53 Depth=3
	s_or_b64 exec, exec, s[52:53]
	s_orn2_b64 s[56:57], s[56:57], exec
	s_orn2_b64 s[52:53], s[54:55], exec
.LBB35_48:                              ;   in Loop: Header=BB35_53 Depth=3
	s_or_b64 exec, exec, s[50:51]
	s_and_b64 s[54:55], s[56:57], exec
	s_orn2_b64 s[50:51], s[52:53], exec
.LBB35_49:                              ;   in Loop: Header=BB35_53 Depth=3
	s_or_b64 exec, exec, s[48:49]
	s_orn2_b64 s[48:49], s[54:55], exec
	s_orn2_b64 s[50:51], s[50:51], exec
.LBB35_50:                              ;   in Loop: Header=BB35_53 Depth=3
	s_or_b64 exec, exec, s[46:47]
	s_and_b64 s[48:49], s[48:49], exec
	s_orn2_b64 s[46:47], s[50:51], exec
.LBB35_51:                              ;   in Loop: Header=BB35_53 Depth=3
	s_or_b64 exec, exec, s[44:45]
	s_andn2_b64 s[40:41], s[40:41], exec
	s_and_b64 s[44:45], s[48:49], exec
	s_or_b64 s[40:41], s[40:41], s[44:45]
	s_andn2_b64 s[38:39], s[38:39], exec
	s_and_b64 s[44:45], s[46:47], exec
	s_or_b64 s[38:39], s[38:39], s[44:45]
.LBB35_52:                              ;   in Loop: Header=BB35_53 Depth=3
	s_or_b64 exec, exec, s[42:43]
	s_and_b64 s[42:43], exec, s[38:39]
	s_or_b64 s[36:37], s[42:43], s[36:37]
	s_andn2_b64 s[30:31], s[30:31], exec
	s_and_b64 s[42:43], s[40:41], exec
	s_or_b64 s[30:31], s[30:31], s[42:43]
	s_andn2_b64 exec, exec, s[36:37]
	s_cbranch_execz .LBB35_62
.LBB35_53:                              ;   Parent Loop BB35_38 Depth=1
                                        ;     Parent Loop BB35_44 Depth=2
                                        ; =>    This Inner Loop Header: Depth=3
	v_and_b32_e32 v20, 0xff, v21
	v_lshl_add_u32 v22, v20, 2, v5
	ds_read_b32 v22, v22
	s_or_b64 s[40:41], s[40:41], exec
	s_or_b64 s[38:39], s[38:39], exec
	s_waitcnt lgkmcnt(0)
	v_cmp_ne_u32_e32 vcc, -1, v22
	s_and_saveexec_b64 s[42:43], vcc
	s_cbranch_execz .LBB35_52
; %bb.54:                               ;   in Loop: Header=BB35_53 Depth=3
	v_cmp_ne_u32_e32 vcc, v22, v14
	s_mov_b64 s[46:47], -1
	s_mov_b64 s[48:49], 0
	s_and_saveexec_b64 s[44:45], vcc
	s_cbranch_execz .LBB35_51
; %bb.55:                               ;   in Loop: Header=BB35_53 Depth=3
	v_add_u32_e32 v20, 1, v21
	v_and_b32_e32 v20, 0xff, v20
	v_lshl_add_u32 v22, v20, 2, v5
	ds_read_b32 v22, v22
	s_mov_b64 s[50:51], -1
	s_mov_b64 s[48:49], -1
	s_waitcnt lgkmcnt(0)
	v_cmp_ne_u32_e32 vcc, -1, v22
	s_and_saveexec_b64 s[46:47], vcc
	s_cbranch_execz .LBB35_50
; %bb.56:                               ;   in Loop: Header=BB35_53 Depth=3
	v_cmp_ne_u32_e32 vcc, v22, v14
	s_mov_b64 s[54:55], 0
	s_and_saveexec_b64 s[48:49], vcc
	s_cbranch_execz .LBB35_49
; %bb.57:                               ;   in Loop: Header=BB35_53 Depth=3
	v_add_u32_e32 v20, 2, v21
	v_and_b32_e32 v20, 0xff, v20
	v_lshl_add_u32 v22, v20, 2, v5
	ds_read_b32 v22, v22
	s_mov_b64 s[52:53], -1
	s_mov_b64 s[56:57], -1
	s_waitcnt lgkmcnt(0)
	v_cmp_ne_u32_e32 vcc, -1, v22
	s_and_saveexec_b64 s[50:51], vcc
	s_cbranch_execz .LBB35_48
; %bb.58:                               ;   in Loop: Header=BB35_53 Depth=3
	v_cmp_ne_u32_e32 vcc, v22, v14
	s_mov_b64 s[54:55], -1
	s_mov_b64 s[56:57], 0
	s_and_saveexec_b64 s[52:53], vcc
	s_cbranch_execz .LBB35_47
; %bb.59:                               ;   in Loop: Header=BB35_53 Depth=3
	v_add_u32_e32 v20, 3, v21
	v_and_b32_e32 v20, 0xff, v20
	v_lshl_add_u32 v21, v20, 2, v5
	ds_read_b32 v22, v21
	s_mov_b64 s[58:59], -1
	s_mov_b64 s[56:57], -1
                                        ; implicit-def: $vgpr21
	s_waitcnt lgkmcnt(0)
	v_cmp_ne_u32_e32 vcc, -1, v22
	s_and_saveexec_b64 s[54:55], vcc
	s_cbranch_execz .LBB35_46
; %bb.60:                               ;   in Loop: Header=BB35_53 Depth=3
	v_cmp_ne_u32_e32 vcc, v22, v14
	s_mov_b64 s[56:57], 0
                                        ; implicit-def: $vgpr21
	s_and_saveexec_b64 s[60:61], vcc
	s_cbranch_execz .LBB35_45
; %bb.61:                               ;   in Loop: Header=BB35_53 Depth=3
	v_add_u32_e32 v15, -4, v15
	v_cmp_eq_u32_e32 vcc, 0, v15
	s_mov_b64 s[56:57], exec
	v_add_u32_e32 v21, 1, v20
	s_orn2_b64 s[58:59], vcc, exec
	s_branch .LBB35_45
.LBB35_62:                              ;   in Loop: Header=BB35_44 Depth=2
	s_or_b64 exec, exec, s[36:37]
	s_xor_b64 s[30:31], s[30:31], -1
	s_and_saveexec_b64 s[36:37], s[30:31]
	s_xor_b64 s[30:31], exec, s[36:37]
	s_cbranch_execz .LBB35_43
; %bb.63:                               ;   in Loop: Header=BB35_44 Depth=2
	v_lshl_add_u32 v14, v20, 2, v18
	ds_read_b32 v14, v14
	v_lshl_add_u64 v[20:21], v[10:11], 3, s[12:13]
	s_waitcnt lgkmcnt(0)
	v_ashrrev_i32_e32 v15, 31, v14
	v_lshl_add_u64 v[14:15], v[14:15], 3, s[12:13]
	global_load_dwordx2 v[22:23], v[20:21], off
	global_load_dwordx2 v[24:25], v[14:15], off
	s_waitcnt vmcnt(0)
	v_pk_fma_f32 v[20:21], v[8:9], v[22:23], v[24:25] op_sel_hi:[1,0,1] neg_lo:[1,0,0] neg_hi:[1,0,0]
	s_nop 0
	v_pk_fma_f32 v[20:21], v[12:13], v[22:23], v[20:21] op_sel:[0,1,0]
	global_store_dwordx2 v[14:15], v[20:21], off
	s_branch .LBB35_43
.LBB35_64:
	s_or_b64 exec, exec, s[4:5]
	v_cmp_lt_i32_e32 vcc, -1, v4
	s_and_saveexec_b64 s[8:9], vcc
	s_cbranch_execz .LBB35_86
; %bb.65:
	v_mov_b32_e32 v5, 0
	v_lshl_add_u64 v[8:9], v[4:5], 3, s[12:13]
	global_load_dwordx2 v[6:7], v[8:9], off
	s_waitcnt vmcnt(0)
	v_cmp_gt_f32_e32 vcc, 0, v6
	s_nop 1
	v_cndmask_b32_e64 v4, v6, -v6, vcc
	v_cmp_gt_f32_e32 vcc, 0, v7
	s_nop 1
	v_cndmask_b32_e64 v10, v7, -v7, vcc
	v_cmp_ngt_f32_e32 vcc, v4, v10
	s_and_saveexec_b64 s[2:3], vcc
	s_xor_b64 s[4:5], exec, s[2:3]
	s_cbranch_execz .LBB35_69
; %bb.66:
	v_cmp_neq_f32_e32 vcc, 0, v7
	s_and_saveexec_b64 s[10:11], vcc
	s_cbranch_execz .LBB35_68
; %bb.67:
	v_div_scale_f32 v5, s[2:3], v10, v10, v4
	v_rcp_f32_e32 v11, v5
	v_div_scale_f32 v12, vcc, v4, v10, v4
	s_mov_b32 s2, 0xf800000
	v_fma_f32 v13, -v5, v11, 1.0
	v_fmac_f32_e32 v11, v13, v11
	v_mul_f32_e32 v13, v12, v11
	v_fma_f32 v14, -v5, v13, v12
	v_fmac_f32_e32 v13, v14, v11
	v_fma_f32 v5, -v5, v13, v12
	v_div_fmas_f32 v5, v5, v11, v13
	v_div_fixup_f32 v4, v5, v10, v4
	v_fma_f32 v4, v4, v4, 1.0
	v_mul_f32_e32 v5, 0x4f800000, v4
	v_cmp_gt_f32_e32 vcc, s2, v4
	s_nop 1
	v_cndmask_b32_e32 v4, v4, v5, vcc
	v_sqrt_f32_e32 v5, v4
	s_nop 0
	v_add_u32_e32 v11, -1, v5
	v_fma_f32 v12, -v11, v5, v4
	v_cmp_ge_f32_e64 s[2:3], 0, v12
	v_add_u32_e32 v12, 1, v5
	s_nop 0
	v_cndmask_b32_e64 v11, v5, v11, s[2:3]
	v_fma_f32 v5, -v12, v5, v4
	v_cmp_lt_f32_e64 s[2:3], 0, v5
	s_nop 1
	v_cndmask_b32_e64 v5, v11, v12, s[2:3]
	v_mul_f32_e32 v11, 0x37800000, v5
	v_cndmask_b32_e32 v5, v5, v11, vcc
	v_mov_b32_e32 v11, 0x260
	v_cmp_class_f32_e32 vcc, v4, v11
	s_nop 1
	v_cndmask_b32_e32 v4, v5, v4, vcc
	v_mul_f32_e32 v5, v10, v4
.LBB35_68:
	s_or_b64 exec, exec, s[10:11]
                                        ; implicit-def: $vgpr4
                                        ; implicit-def: $vgpr10
.LBB35_69:
	s_andn2_saveexec_b64 s[4:5], s[4:5]
	s_cbranch_execz .LBB35_71
; %bb.70:
	v_div_scale_f32 v5, s[2:3], v4, v4, v10
	v_rcp_f32_e32 v11, v5
	v_div_scale_f32 v12, vcc, v10, v4, v10
	s_mov_b32 s2, 0xf800000
	v_fma_f32 v13, -v5, v11, 1.0
	v_fmac_f32_e32 v11, v13, v11
	v_mul_f32_e32 v13, v12, v11
	v_fma_f32 v14, -v5, v13, v12
	v_fmac_f32_e32 v13, v14, v11
	v_fma_f32 v5, -v5, v13, v12
	v_div_fmas_f32 v5, v5, v11, v13
	v_div_fixup_f32 v5, v5, v4, v10
	v_fma_f32 v5, v5, v5, 1.0
	v_mul_f32_e32 v10, 0x4f800000, v5
	v_cmp_gt_f32_e32 vcc, s2, v5
	s_nop 1
	v_cndmask_b32_e32 v5, v5, v10, vcc
	v_sqrt_f32_e32 v10, v5
	s_nop 0
	v_add_u32_e32 v11, -1, v10
	v_fma_f32 v12, -v11, v10, v5
	v_cmp_ge_f32_e64 s[2:3], 0, v12
	v_add_u32_e32 v12, 1, v10
	s_nop 0
	v_cndmask_b32_e64 v11, v10, v11, s[2:3]
	v_fma_f32 v10, -v12, v10, v5
	v_cmp_lt_f32_e64 s[2:3], 0, v10
	s_nop 1
	v_cndmask_b32_e64 v10, v11, v12, s[2:3]
	v_mul_f32_e32 v11, 0x37800000, v10
	v_cndmask_b32_e32 v10, v10, v11, vcc
	v_mov_b32_e32 v11, 0x260
	v_cmp_class_f32_e32 vcc, v5, v11
	s_nop 1
	v_cndmask_b32_e32 v5, v10, v5, vcc
	v_mul_f32_e32 v5, v4, v5
.LBB35_71:
	s_or_b64 exec, exec, s[4:5]
	v_cvt_f64_f32_e32 v[4:5], v5
	v_cmp_eq_u32_e64 s[4:5], 0, v16
	s_and_b64 vcc, exec, s[6:7]
	s_mov_b64 s[2:3], -1
	s_cbranch_vccnz .LBB35_75
; %bb.72:
	s_cmp_eq_u64 s[24:25], 8
	v_cvt_f64_f32_e32 v[10:11], v17
	s_cselect_b64 vcc, -1, 0
	v_cndmask_b32_e32 v3, v11, v3, vcc
	v_cndmask_b32_e32 v2, v10, v2, vcc
	v_cmp_ge_f64_e32 vcc, v[2:3], v[4:5]
	s_and_b64 s[6:7], s[4:5], vcc
	s_and_saveexec_b64 s[2:3], s[6:7]
	s_cbranch_execz .LBB35_74
; %bb.73:
	v_mov_b32_e32 v2, s33
	v_mov_b32_e32 v3, s35
	global_store_dwordx2 v[8:9], v[2:3], off
	buffer_wbl2 sc1
	s_waitcnt vmcnt(0)
	buffer_inv sc1
.LBB35_74:
	s_or_b64 exec, exec, s[2:3]
	s_mov_b64 s[2:3], 0
.LBB35_75:
	s_andn2_b64 vcc, exec, s[2:3]
	s_cbranch_vccnz .LBB35_86
; %bb.76:
	s_load_dwordx2 s[0:1], s[0:1], 0x48
	v_add_u32_e32 v2, s34, v0
	s_waitcnt lgkmcnt(0)
	v_cmp_ge_f64_e32 vcc, s[0:1], v[4:5]
	s_and_b64 s[2:3], s[4:5], vcc
	s_and_saveexec_b64 s[0:1], s[2:3]
	s_cbranch_execz .LBB35_81
; %bb.77:
	s_mov_b64 s[2:3], exec
	s_brev_b32 s6, -2
.LBB35_78:                              ; =>This Inner Loop Header: Depth=1
	s_ff1_i32_b64 s7, s[2:3]
	v_readlane_b32 s12, v2, s7
	s_lshl_b64 s[10:11], 1, s7
	s_min_i32 s6, s6, s12
	s_andn2_b64 s[2:3], s[2:3], s[10:11]
	s_cmp_lg_u64 s[2:3], 0
	s_cbranch_scc1 .LBB35_78
; %bb.79:
	v_mbcnt_lo_u32_b32 v3, exec_lo, 0
	v_mbcnt_hi_u32_b32 v3, exec_hi, v3
	v_cmp_eq_u32_e32 vcc, 0, v3
	s_and_saveexec_b64 s[2:3], vcc
	s_xor_b64 s[2:3], exec, s[2:3]
	s_cbranch_execz .LBB35_81
; %bb.80:
	v_mov_b32_e32 v3, 0
	v_mov_b32_e32 v4, s6
	global_atomic_smin v3, v4, s[22:23]
.LBB35_81:
	s_or_b64 exec, exec, s[0:1]
	v_cmp_eq_f32_e32 vcc, 0, v6
	v_cmp_eq_f32_e64 s[0:1], 0, v7
	s_and_b64 s[0:1], vcc, s[0:1]
	s_and_b64 s[0:1], s[4:5], s[0:1]
	s_and_b64 exec, exec, s[0:1]
	s_cbranch_execz .LBB35_86
; %bb.82:
	s_mov_b64 s[0:1], exec
	s_brev_b32 s2, -2
.LBB35_83:                              ; =>This Inner Loop Header: Depth=1
	s_ff1_i32_b64 s3, s[0:1]
	v_readlane_b32 s6, v2, s3
	s_lshl_b64 s[4:5], 1, s3
	s_min_i32 s2, s2, s6
	s_andn2_b64 s[0:1], s[0:1], s[4:5]
	s_cmp_lg_u64 s[0:1], 0
	s_cbranch_scc1 .LBB35_83
; %bb.84:
	v_mbcnt_lo_u32_b32 v2, exec_lo, 0
	v_mbcnt_hi_u32_b32 v2, exec_hi, v2
	v_cmp_eq_u32_e32 vcc, 0, v2
	s_and_saveexec_b64 s[0:1], vcc
	s_xor_b64 s[0:1], exec, s[0:1]
	s_cbranch_execz .LBB35_86
; %bb.85:
	v_mov_b32_e32 v2, 0
	v_mov_b32_e32 v3, s2
	global_atomic_smin v2, v3, s[20:21]
.LBB35_86:
	s_or_b64 exec, exec, s[8:9]
	v_cmp_eq_u32_e32 vcc, 0, v16
	buffer_wbl2 sc1
	s_waitcnt vmcnt(0)
	buffer_inv sc1
	s_and_b64 exec, exec, vcc
	s_cbranch_execz .LBB35_88
; %bb.87:
	v_lshl_add_u64 v[0:1], v[0:1], 2, s[16:17]
	v_mov_b32_e32 v2, 1
	buffer_wbl2 sc1
	global_store_dword v[0:1], v2, off sc1
.LBB35_88:
	s_endpgm
	.section	.rodata,"a",@progbits
	.p2align	6, 0x0
	.amdhsa_kernel _ZN9rocsparseL12csrilu0_hashILj256ELj64ELj4E21rocsparse_complex_numIfEEEviPKiS4_PT2_S4_PiS4_S7_S7_d21rocsparse_index_base_imNS_24const_host_device_scalarIfEENS9_IdEENS9_IS5_EEb
		.amdhsa_group_segment_fixed_size 8192
		.amdhsa_private_segment_fixed_size 0
		.amdhsa_kernarg_size 124
		.amdhsa_user_sgpr_count 2
		.amdhsa_user_sgpr_dispatch_ptr 0
		.amdhsa_user_sgpr_queue_ptr 0
		.amdhsa_user_sgpr_kernarg_segment_ptr 1
		.amdhsa_user_sgpr_dispatch_id 0
		.amdhsa_user_sgpr_kernarg_preload_length 0
		.amdhsa_user_sgpr_kernarg_preload_offset 0
		.amdhsa_user_sgpr_private_segment_size 0
		.amdhsa_uses_dynamic_stack 0
		.amdhsa_enable_private_segment 0
		.amdhsa_system_sgpr_workgroup_id_x 1
		.amdhsa_system_sgpr_workgroup_id_y 0
		.amdhsa_system_sgpr_workgroup_id_z 0
		.amdhsa_system_sgpr_workgroup_info 0
		.amdhsa_system_vgpr_workitem_id 0
		.amdhsa_next_free_vgpr 26
		.amdhsa_next_free_sgpr 63
		.amdhsa_accum_offset 28
		.amdhsa_reserve_vcc 1
		.amdhsa_float_round_mode_32 0
		.amdhsa_float_round_mode_16_64 0
		.amdhsa_float_denorm_mode_32 3
		.amdhsa_float_denorm_mode_16_64 3
		.amdhsa_dx10_clamp 1
		.amdhsa_ieee_mode 1
		.amdhsa_fp16_overflow 0
		.amdhsa_tg_split 0
		.amdhsa_exception_fp_ieee_invalid_op 0
		.amdhsa_exception_fp_denorm_src 0
		.amdhsa_exception_fp_ieee_div_zero 0
		.amdhsa_exception_fp_ieee_overflow 0
		.amdhsa_exception_fp_ieee_underflow 0
		.amdhsa_exception_fp_ieee_inexact 0
		.amdhsa_exception_int_div_zero 0
	.end_amdhsa_kernel
	.section	.text._ZN9rocsparseL12csrilu0_hashILj256ELj64ELj4E21rocsparse_complex_numIfEEEviPKiS4_PT2_S4_PiS4_S7_S7_d21rocsparse_index_base_imNS_24const_host_device_scalarIfEENS9_IdEENS9_IS5_EEb,"axG",@progbits,_ZN9rocsparseL12csrilu0_hashILj256ELj64ELj4E21rocsparse_complex_numIfEEEviPKiS4_PT2_S4_PiS4_S7_S7_d21rocsparse_index_base_imNS_24const_host_device_scalarIfEENS9_IdEENS9_IS5_EEb,comdat
.Lfunc_end35:
	.size	_ZN9rocsparseL12csrilu0_hashILj256ELj64ELj4E21rocsparse_complex_numIfEEEviPKiS4_PT2_S4_PiS4_S7_S7_d21rocsparse_index_base_imNS_24const_host_device_scalarIfEENS9_IdEENS9_IS5_EEb, .Lfunc_end35-_ZN9rocsparseL12csrilu0_hashILj256ELj64ELj4E21rocsparse_complex_numIfEEEviPKiS4_PT2_S4_PiS4_S7_S7_d21rocsparse_index_base_imNS_24const_host_device_scalarIfEENS9_IdEENS9_IS5_EEb
                                        ; -- End function
	.set _ZN9rocsparseL12csrilu0_hashILj256ELj64ELj4E21rocsparse_complex_numIfEEEviPKiS4_PT2_S4_PiS4_S7_S7_d21rocsparse_index_base_imNS_24const_host_device_scalarIfEENS9_IdEENS9_IS5_EEb.num_vgpr, 26
	.set _ZN9rocsparseL12csrilu0_hashILj256ELj64ELj4E21rocsparse_complex_numIfEEEviPKiS4_PT2_S4_PiS4_S7_S7_d21rocsparse_index_base_imNS_24const_host_device_scalarIfEENS9_IdEENS9_IS5_EEb.num_agpr, 0
	.set _ZN9rocsparseL12csrilu0_hashILj256ELj64ELj4E21rocsparse_complex_numIfEEEviPKiS4_PT2_S4_PiS4_S7_S7_d21rocsparse_index_base_imNS_24const_host_device_scalarIfEENS9_IdEENS9_IS5_EEb.numbered_sgpr, 63
	.set _ZN9rocsparseL12csrilu0_hashILj256ELj64ELj4E21rocsparse_complex_numIfEEEviPKiS4_PT2_S4_PiS4_S7_S7_d21rocsparse_index_base_imNS_24const_host_device_scalarIfEENS9_IdEENS9_IS5_EEb.num_named_barrier, 0
	.set _ZN9rocsparseL12csrilu0_hashILj256ELj64ELj4E21rocsparse_complex_numIfEEEviPKiS4_PT2_S4_PiS4_S7_S7_d21rocsparse_index_base_imNS_24const_host_device_scalarIfEENS9_IdEENS9_IS5_EEb.private_seg_size, 0
	.set _ZN9rocsparseL12csrilu0_hashILj256ELj64ELj4E21rocsparse_complex_numIfEEEviPKiS4_PT2_S4_PiS4_S7_S7_d21rocsparse_index_base_imNS_24const_host_device_scalarIfEENS9_IdEENS9_IS5_EEb.uses_vcc, 1
	.set _ZN9rocsparseL12csrilu0_hashILj256ELj64ELj4E21rocsparse_complex_numIfEEEviPKiS4_PT2_S4_PiS4_S7_S7_d21rocsparse_index_base_imNS_24const_host_device_scalarIfEENS9_IdEENS9_IS5_EEb.uses_flat_scratch, 0
	.set _ZN9rocsparseL12csrilu0_hashILj256ELj64ELj4E21rocsparse_complex_numIfEEEviPKiS4_PT2_S4_PiS4_S7_S7_d21rocsparse_index_base_imNS_24const_host_device_scalarIfEENS9_IdEENS9_IS5_EEb.has_dyn_sized_stack, 0
	.set _ZN9rocsparseL12csrilu0_hashILj256ELj64ELj4E21rocsparse_complex_numIfEEEviPKiS4_PT2_S4_PiS4_S7_S7_d21rocsparse_index_base_imNS_24const_host_device_scalarIfEENS9_IdEENS9_IS5_EEb.has_recursion, 0
	.set _ZN9rocsparseL12csrilu0_hashILj256ELj64ELj4E21rocsparse_complex_numIfEEEviPKiS4_PT2_S4_PiS4_S7_S7_d21rocsparse_index_base_imNS_24const_host_device_scalarIfEENS9_IdEENS9_IS5_EEb.has_indirect_call, 0
	.section	.AMDGPU.csdata,"",@progbits
; Kernel info:
; codeLenInByte = 3108
; TotalNumSgprs: 69
; NumVgprs: 26
; NumAgprs: 0
; TotalNumVgprs: 26
; ScratchSize: 0
; MemoryBound: 0
; FloatMode: 240
; IeeeMode: 1
; LDSByteSize: 8192 bytes/workgroup (compile time only)
; SGPRBlocks: 8
; VGPRBlocks: 3
; NumSGPRsForWavesPerEU: 69
; NumVGPRsForWavesPerEU: 26
; AccumOffset: 28
; Occupancy: 8
; WaveLimiterHint : 1
; COMPUTE_PGM_RSRC2:SCRATCH_EN: 0
; COMPUTE_PGM_RSRC2:USER_SGPR: 2
; COMPUTE_PGM_RSRC2:TRAP_HANDLER: 0
; COMPUTE_PGM_RSRC2:TGID_X_EN: 1
; COMPUTE_PGM_RSRC2:TGID_Y_EN: 0
; COMPUTE_PGM_RSRC2:TGID_Z_EN: 0
; COMPUTE_PGM_RSRC2:TIDIG_COMP_CNT: 0
; COMPUTE_PGM_RSRC3_GFX90A:ACCUM_OFFSET: 6
; COMPUTE_PGM_RSRC3_GFX90A:TG_SPLIT: 0
	.section	.text._ZN9rocsparseL12csrilu0_hashILj256ELj64ELj8E21rocsparse_complex_numIfEEEviPKiS4_PT2_S4_PiS4_S7_S7_d21rocsparse_index_base_imNS_24const_host_device_scalarIfEENS9_IdEENS9_IS5_EEb,"axG",@progbits,_ZN9rocsparseL12csrilu0_hashILj256ELj64ELj8E21rocsparse_complex_numIfEEEviPKiS4_PT2_S4_PiS4_S7_S7_d21rocsparse_index_base_imNS_24const_host_device_scalarIfEENS9_IdEENS9_IS5_EEb,comdat
	.globl	_ZN9rocsparseL12csrilu0_hashILj256ELj64ELj8E21rocsparse_complex_numIfEEEviPKiS4_PT2_S4_PiS4_S7_S7_d21rocsparse_index_base_imNS_24const_host_device_scalarIfEENS9_IdEENS9_IS5_EEb ; -- Begin function _ZN9rocsparseL12csrilu0_hashILj256ELj64ELj8E21rocsparse_complex_numIfEEEviPKiS4_PT2_S4_PiS4_S7_S7_d21rocsparse_index_base_imNS_24const_host_device_scalarIfEENS9_IdEENS9_IS5_EEb
	.p2align	8
	.type	_ZN9rocsparseL12csrilu0_hashILj256ELj64ELj8E21rocsparse_complex_numIfEEEviPKiS4_PT2_S4_PiS4_S7_S7_d21rocsparse_index_base_imNS_24const_host_device_scalarIfEENS9_IdEENS9_IS5_EEb,@function
_ZN9rocsparseL12csrilu0_hashILj256ELj64ELj8E21rocsparse_complex_numIfEEEviPKiS4_PT2_S4_PiS4_S7_S7_d21rocsparse_index_base_imNS_24const_host_device_scalarIfEENS9_IdEENS9_IS5_EEb: ; @_ZN9rocsparseL12csrilu0_hashILj256ELj64ELj8E21rocsparse_complex_numIfEEEviPKiS4_PT2_S4_PiS4_S7_S7_d21rocsparse_index_base_imNS_24const_host_device_scalarIfEENS9_IdEENS9_IS5_EEb
; %bb.0:
	s_load_dword s3, s[0:1], 0x78
	s_load_dwordx2 s[34:35], s[0:1], 0x50
	s_load_dwordx8 s[24:31], s[0:1], 0x58
	s_waitcnt lgkmcnt(0)
	s_bitcmp1_b32 s3, 0
	s_cselect_b64 s[4:5], -1, 0
	s_cmp_eq_u32 s35, 0
	s_cselect_b64 s[12:13], -1, 0
	s_cmp_lg_u32 s35, 0
	s_cselect_b64 s[8:9], -1, 0
	s_or_b64 s[14:15], s[12:13], s[4:5]
	s_xor_b64 s[6:7], s[14:15], -1
	s_and_b64 s[10:11], s[12:13], exec
	s_cselect_b32 s11, 0, s29
	s_cselect_b32 s10, 0, s28
	s_and_b64 vcc, exec, s[14:15]
	s_cbranch_vccnz .LBB36_2
; %bb.1:
	s_load_dword s3, s[26:27], 0x0
	s_mov_b64 s[10:11], s[28:29]
	s_waitcnt lgkmcnt(0)
	v_mov_b32_e32 v17, s3
	s_andn2_b64 vcc, exec, s[6:7]
	v_mov_b64_e32 v[2:3], s[10:11]
	s_cbranch_vccz .LBB36_3
	s_branch .LBB36_4
.LBB36_2:
	v_mov_b32_e32 v1, s26
	v_cndmask_b32_e64 v17, v1, 0, s[12:13]
	s_andn2_b64 vcc, exec, s[6:7]
	v_mov_b64_e32 v[2:3], s[10:11]
	s_cbranch_vccnz .LBB36_4
.LBB36_3:
	v_mov_b64_e32 v[2:3], s[28:29]
	flat_load_dwordx2 v[2:3], v[2:3]
.LBB36_4:
	v_cndmask_b32_e64 v1, 0, 1, s[8:9]
	s_mov_b32 s33, 0
	v_cmp_ne_u32_e64 s[6:7], 1, v1
	s_andn2_b64 vcc, exec, s[8:9]
	s_mov_b32 s35, 0
	s_cbranch_vccnz .LBB36_10
; %bb.5:
	s_xor_b64 s[8:9], s[4:5], -1
	v_cndmask_b32_e64 v1, 0, 1, s[8:9]
	v_cmp_ne_u32_e64 s[4:5], 1, v1
	s_andn2_b64 vcc, exec, s[8:9]
	s_mov_b32 s33, s30
	s_cbranch_vccnz .LBB36_7
; %bb.6:
	s_load_dword s33, s[30:31], 0x0
.LBB36_7:
	s_and_b64 vcc, exec, s[4:5]
	s_cbranch_vccnz .LBB36_9
; %bb.8:
	s_load_dword s31, s[30:31], 0x4
.LBB36_9:
	s_waitcnt lgkmcnt(0)
	s_mov_b32 s35, s31
.LBB36_10:
	s_load_dword s3, s[0:1], 0x0
	v_lshlrev_b32_e32 v1, 3, v0
	s_lshl_b32 s2, s2, 2
	v_and_b32_e32 v16, 63, v0
	v_and_b32_e32 v6, 0x600, v1
	v_mov_b32_e32 v1, 0x2000
	v_lshrrev_b32_e32 v0, 6, v0
	s_and_b32 s2, s2, 0x3fffffc
	v_lshl_or_b32 v5, v6, 2, v1
	v_or_b32_e32 v0, s2, v0
	v_lshl_or_b32 v1, v16, 2, v5
	v_mov_b32_e32 v4, -1
	s_waitcnt lgkmcnt(0)
	v_cmp_gt_i32_e32 vcc, s3, v0
	ds_write2st64_b32 v1, v4, v4 offset1:1
	ds_write2st64_b32 v1, v4, v4 offset0:2 offset1:3
	ds_write2st64_b32 v1, v4, v4 offset0:4 offset1:5
	;; [unrolled: 1-line block ×3, first 2 shown]
	s_waitcnt lgkmcnt(0)
	s_and_saveexec_b64 s[2:3], vcc
	s_cbranch_execz .LBB36_88
; %bb.11:
	s_load_dwordx16 s[8:23], s[0:1], 0x8
	v_lshlrev_b32_e32 v0, 2, v0
	v_lshlrev_b32_e32 v18, 2, v6
	s_waitcnt lgkmcnt(0)
	global_load_dword v0, v0, s[18:19]
	s_waitcnt vmcnt(0)
	v_ashrrev_i32_e32 v1, 31, v0
	v_lshlrev_b64 v[8:9], 2, v[0:1]
	v_lshl_add_u64 v[10:11], s[8:9], 0, v[8:9]
	global_load_dwordx2 v[10:11], v[10:11], off
	v_lshl_add_u64 v[8:9], s[14:15], 0, v[8:9]
	global_load_dword v4, v[8:9], off
	s_waitcnt vmcnt(1)
	v_subrev_u32_e32 v6, s34, v10
	v_subrev_u32_e32 v7, s34, v11
	v_add_u32_e32 v8, v6, v16
	v_cmp_lt_i32_e32 vcc, v8, v7
	s_and_saveexec_b64 s[2:3], vcc
	s_cbranch_execz .LBB36_34
; %bb.12:
	s_mov_b64 s[4:5], 0
	s_movk_i32 s56, 0x67
	v_mov_b32_e32 v10, -1
	s_branch .LBB36_14
.LBB36_13:                              ;   in Loop: Header=BB36_14 Depth=1
	s_or_b64 exec, exec, s[18:19]
	v_add_u32_e32 v8, 64, v8
	v_cmp_ge_i32_e32 vcc, v8, v7
	s_or_b64 s[4:5], vcc, s[4:5]
	s_andn2_b64 exec, exec, s[4:5]
	s_cbranch_execz .LBB36_34
.LBB36_14:                              ; =>This Loop Header: Depth=1
                                        ;     Child Loop BB36_23 Depth 2
	v_ashrrev_i32_e32 v9, 31, v8
	v_lshl_add_u64 v[12:13], v[8:9], 2, s[10:11]
	global_load_dword v9, v[12:13], off
	v_mov_b32_e32 v11, 0x200
	s_mov_b64 s[26:27], 0
                                        ; implicit-def: $sgpr18_sgpr19
                                        ; implicit-def: $sgpr28_sgpr29
                                        ; implicit-def: $sgpr30_sgpr31
	s_waitcnt vmcnt(0)
	v_mul_lo_u32 v13, v9, s56
	s_branch .LBB36_23
.LBB36_15:                              ;   in Loop: Header=BB36_23 Depth=2
	s_or_b64 exec, exec, s[54:55]
	s_orn2_b64 s[50:51], s[50:51], exec
	s_orn2_b64 s[52:53], s[52:53], exec
.LBB36_16:                              ;   in Loop: Header=BB36_23 Depth=2
	s_or_b64 exec, exec, s[48:49]
	s_and_b64 s[50:51], s[50:51], exec
	s_orn2_b64 s[48:49], s[52:53], exec
.LBB36_17:                              ;   in Loop: Header=BB36_23 Depth=2
	s_or_b64 exec, exec, s[46:47]
	s_orn2_b64 s[50:51], s[50:51], exec
	s_orn2_b64 s[46:47], s[48:49], exec
.LBB36_18:                              ;   in Loop: Header=BB36_23 Depth=2
	s_or_b64 exec, exec, s[44:45]
	s_and_b64 s[48:49], s[50:51], exec
	s_orn2_b64 s[44:45], s[46:47], exec
.LBB36_19:                              ;   in Loop: Header=BB36_23 Depth=2
	s_or_b64 exec, exec, s[42:43]
	s_orn2_b64 s[42:43], s[48:49], exec
	s_orn2_b64 s[44:45], s[44:45], exec
.LBB36_20:                              ;   in Loop: Header=BB36_23 Depth=2
	s_or_b64 exec, exec, s[40:41]
	s_and_b64 s[42:43], s[42:43], exec
	s_orn2_b64 s[40:41], s[44:45], exec
.LBB36_21:                              ;   in Loop: Header=BB36_23 Depth=2
	s_or_b64 exec, exec, s[38:39]
	s_andn2_b64 s[30:31], s[30:31], exec
	s_and_b64 s[38:39], s[42:43], exec
	s_or_b64 s[30:31], s[30:31], s[38:39]
	s_andn2_b64 s[28:29], s[28:29], exec
	s_and_b64 s[38:39], s[40:41], exec
	s_or_b64 s[28:29], s[28:29], s[38:39]
.LBB36_22:                              ;   in Loop: Header=BB36_23 Depth=2
	s_or_b64 exec, exec, s[36:37]
	s_and_b64 s[36:37], exec, s[28:29]
	s_or_b64 s[26:27], s[36:37], s[26:27]
	s_andn2_b64 s[18:19], s[18:19], exec
	s_and_b64 s[36:37], s[30:31], exec
	s_or_b64 s[18:19], s[18:19], s[36:37]
	s_andn2_b64 exec, exec, s[26:27]
	s_cbranch_execz .LBB36_32
.LBB36_23:                              ;   Parent Loop BB36_14 Depth=1
                                        ; =>  This Inner Loop Header: Depth=2
	v_and_b32_e32 v12, 0x1ff, v13
	v_lshl_add_u32 v14, v12, 2, v5
	ds_read_b32 v15, v14
	s_or_b64 s[30:31], s[30:31], exec
	s_or_b64 s[28:29], s[28:29], exec
	s_waitcnt lgkmcnt(0)
	v_cmp_ne_u32_e32 vcc, v15, v9
	s_and_saveexec_b64 s[36:37], vcc
	s_cbranch_execz .LBB36_22
; %bb.24:                               ;   in Loop: Header=BB36_23 Depth=2
	ds_cmpst_rtn_b32 v14, v14, v10, v9
	s_mov_b64 s[40:41], -1
	s_mov_b64 s[42:43], 0
	s_waitcnt lgkmcnt(0)
	v_cmp_ne_u32_e32 vcc, -1, v14
	s_and_saveexec_b64 s[38:39], vcc
	s_cbranch_execz .LBB36_21
; %bb.25:                               ;   in Loop: Header=BB36_23 Depth=2
	v_add_u32_e32 v12, 1, v13
	v_and_b32_e32 v12, 0x1ff, v12
	v_lshl_add_u32 v14, v12, 2, v5
	ds_read_b32 v15, v14
	s_mov_b64 s[44:45], -1
	s_mov_b64 s[42:43], -1
	s_waitcnt lgkmcnt(0)
	v_cmp_ne_u32_e32 vcc, v15, v9
	s_and_saveexec_b64 s[40:41], vcc
	s_cbranch_execz .LBB36_20
; %bb.26:                               ;   in Loop: Header=BB36_23 Depth=2
	ds_cmpst_rtn_b32 v14, v14, v10, v9
	s_mov_b64 s[48:49], 0
	s_waitcnt lgkmcnt(0)
	v_cmp_ne_u32_e32 vcc, -1, v14
	s_and_saveexec_b64 s[42:43], vcc
	s_cbranch_execz .LBB36_19
; %bb.27:                               ;   in Loop: Header=BB36_23 Depth=2
	v_add_u32_e32 v12, 2, v13
	v_and_b32_e32 v12, 0x1ff, v12
	v_lshl_add_u32 v14, v12, 2, v5
	ds_read_b32 v15, v14
	s_mov_b64 s[46:47], -1
	s_mov_b64 s[50:51], -1
	s_waitcnt lgkmcnt(0)
	v_cmp_ne_u32_e32 vcc, v15, v9
	s_and_saveexec_b64 s[44:45], vcc
	s_cbranch_execz .LBB36_18
; %bb.28:                               ;   in Loop: Header=BB36_23 Depth=2
	ds_cmpst_rtn_b32 v14, v14, v10, v9
	s_mov_b64 s[48:49], -1
	s_mov_b64 s[50:51], 0
	s_waitcnt lgkmcnt(0)
	v_cmp_ne_u32_e32 vcc, -1, v14
	s_and_saveexec_b64 s[46:47], vcc
	s_cbranch_execz .LBB36_17
; %bb.29:                               ;   in Loop: Header=BB36_23 Depth=2
	v_add_u32_e32 v12, 3, v13
	v_and_b32_e32 v12, 0x1ff, v12
	v_lshl_add_u32 v14, v12, 2, v5
	ds_read_b32 v13, v14
	s_mov_b64 s[52:53], -1
	s_mov_b64 s[50:51], -1
	s_waitcnt lgkmcnt(0)
	v_cmp_ne_u32_e32 vcc, v13, v9
                                        ; implicit-def: $vgpr13
	s_and_saveexec_b64 s[48:49], vcc
	s_cbranch_execz .LBB36_16
; %bb.30:                               ;   in Loop: Header=BB36_23 Depth=2
	ds_cmpst_rtn_b32 v13, v14, v10, v9
	s_mov_b64 s[50:51], 0
	s_waitcnt lgkmcnt(0)
	v_cmp_ne_u32_e32 vcc, -1, v13
                                        ; implicit-def: $vgpr13
	s_and_saveexec_b64 s[54:55], vcc
	s_cbranch_execz .LBB36_15
; %bb.31:                               ;   in Loop: Header=BB36_23 Depth=2
	v_add_u32_e32 v11, -4, v11
	v_cmp_eq_u32_e32 vcc, 0, v11
	s_mov_b64 s[50:51], exec
	v_add_u32_e32 v13, 1, v12
	s_orn2_b64 s[52:53], vcc, exec
	s_branch .LBB36_15
.LBB36_32:                              ;   in Loop: Header=BB36_14 Depth=1
	s_or_b64 exec, exec, s[26:27]
	s_xor_b64 s[18:19], s[18:19], -1
	s_and_saveexec_b64 s[26:27], s[18:19]
	s_xor_b64 s[18:19], exec, s[26:27]
	s_cbranch_execz .LBB36_13
; %bb.33:                               ;   in Loop: Header=BB36_14 Depth=1
	v_lshl_add_u32 v9, v12, 2, v18
	ds_write_b32 v9, v8
	s_branch .LBB36_13
.LBB36_34:
	s_or_b64 exec, exec, s[2:3]
	s_waitcnt vmcnt(0)
	v_cmp_lt_i32_e32 vcc, v6, v4
	s_waitcnt lgkmcnt(0)
	s_and_saveexec_b64 s[4:5], vcc
	s_cbranch_execz .LBB36_64
; %bb.35:
	v_add_u32_e32 v19, 1, v16
	s_mov_b64 s[18:19], 0
	s_movk_i32 s62, 0x67
	s_branch .LBB36_38
.LBB36_36:                              ;   in Loop: Header=BB36_38 Depth=1
	s_or_b64 exec, exec, s[26:27]
	v_add_u32_e32 v6, 1, v6
	v_cmp_ge_i32_e32 vcc, v6, v4
	s_orn2_b64 s[26:27], vcc, exec
.LBB36_37:                              ;   in Loop: Header=BB36_38 Depth=1
	s_or_b64 exec, exec, s[2:3]
	s_and_b64 s[2:3], exec, s[26:27]
	s_or_b64 s[18:19], s[2:3], s[18:19]
	s_andn2_b64 exec, exec, s[18:19]
	s_cbranch_execz .LBB36_64
.LBB36_38:                              ; =>This Loop Header: Depth=1
                                        ;     Child Loop BB36_39 Depth 2
                                        ;     Child Loop BB36_44 Depth 2
                                        ;       Child Loop BB36_53 Depth 3
	v_ashrrev_i32_e32 v7, 31, v6
	v_lshl_add_u64 v[8:9], v[6:7], 2, s[10:11]
	global_load_dword v12, v[8:9], off
	v_lshl_add_u64 v[10:11], v[6:7], 3, s[12:13]
	global_load_dwordx2 v[8:9], v[10:11], off
	s_mov_b64 s[2:3], 0
	s_waitcnt vmcnt(1)
	v_subrev_u32_e32 v12, s34, v12
	v_ashrrev_i32_e32 v13, 31, v12
	v_lshlrev_b64 v[12:13], 2, v[12:13]
	v_lshl_add_u64 v[20:21], s[8:9], 0, v[12:13]
	v_lshl_add_u64 v[22:23], s[14:15], 0, v[12:13]
	global_load_dword v7, v[20:21], off offset:4
	global_load_dword v14, v[22:23], off
	v_lshl_add_u64 v[12:13], s[16:17], 0, v[12:13]
.LBB36_39:                              ;   Parent Loop BB36_38 Depth=1
                                        ; =>  This Inner Loop Header: Depth=2
	global_load_dword v15, v[12:13], off sc1
	s_waitcnt vmcnt(0)
	v_cmp_ne_u32_e32 vcc, 0, v15
	s_or_b64 s[2:3], vcc, s[2:3]
	s_andn2_b64 exec, exec, s[2:3]
	s_cbranch_execnz .LBB36_39
; %bb.40:                               ;   in Loop: Header=BB36_38 Depth=1
	s_or_b64 exec, exec, s[2:3]
	v_subrev_u32_e32 v7, s34, v7
	v_add_u32_e32 v12, -1, v7
	v_cmp_eq_u32_e32 vcc, -1, v14
	buffer_inv sc1
	s_mov_b64 s[26:27], -1
	v_cndmask_b32_e32 v12, v14, v12, vcc
	v_ashrrev_i32_e32 v13, 31, v12
	v_lshl_add_u64 v[14:15], v[12:13], 3, s[12:13]
	global_load_dwordx2 v[14:15], v[14:15], off
	s_waitcnt vmcnt(0)
	v_cmp_neq_f32_e32 vcc, 0, v14
	v_cmp_neq_f32_e64 s[2:3], 0, v15
	s_or_b64 s[28:29], vcc, s[2:3]
	s_and_saveexec_b64 s[2:3], s[28:29]
	s_cbranch_execz .LBB36_37
; %bb.41:                               ;   in Loop: Header=BB36_38 Depth=1
	v_mul_f32_e32 v13, v15, v15
	v_fmac_f32_e32 v13, v14, v14
	v_div_scale_f32 v20, s[26:27], v13, v13, 1.0
	v_rcp_f32_e32 v21, v20
	v_div_scale_f32 v22, vcc, 1.0, v13, 1.0
	v_fma_f32 v23, -v20, v21, 1.0
	v_fmac_f32_e32 v21, v23, v21
	v_mul_f32_e32 v23, v22, v21
	v_fma_f32 v24, -v20, v23, v22
	v_fmac_f32_e32 v23, v24, v21
	v_fma_f32 v20, -v20, v23, v22
	v_div_fmas_f32 v20, v20, v21, v23
	v_xor_b32_e32 v23, 0x80000000, v8
	v_mov_b32_e32 v22, v9
	v_mov_b32_e32 v24, v15
	v_pk_mul_f32 v[22:23], v[22:23], v[24:25] op_sel_hi:[1,0]
	v_div_fixup_f32 v20, v20, v13, 1.0
	v_pk_fma_f32 v[8:9], v[8:9], v[14:15], v[22:23] op_sel_hi:[1,0,1]
	s_nop 0
	v_pk_mul_f32 v[8:9], v[8:9], v[20:21] op_sel_hi:[1,0]
	global_store_dwordx2 v[10:11], v[8:9], off
	v_add_u32_e32 v10, v19, v12
	v_cmp_lt_i32_e32 vcc, v10, v7
	s_and_saveexec_b64 s[26:27], vcc
	s_cbranch_execz .LBB36_36
; %bb.42:                               ;   in Loop: Header=BB36_38 Depth=1
	v_pk_add_f32 v[12:13], v[8:9], 0 neg_lo:[1,1] neg_hi:[1,1]
	s_mov_b64 s[28:29], 0
	v_pk_mov_b32 v[12:13], v[8:9], v[12:13] op_sel:[1,0]
	s_branch .LBB36_44
.LBB36_43:                              ;   in Loop: Header=BB36_44 Depth=2
	s_or_b64 exec, exec, s[30:31]
	v_add_u32_e32 v10, 64, v10
	v_cmp_ge_i32_e32 vcc, v10, v7
	s_or_b64 s[28:29], vcc, s[28:29]
	s_andn2_b64 exec, exec, s[28:29]
	s_cbranch_execz .LBB36_36
.LBB36_44:                              ;   Parent Loop BB36_38 Depth=1
                                        ; =>  This Loop Header: Depth=2
                                        ;       Child Loop BB36_53 Depth 3
	v_ashrrev_i32_e32 v11, 31, v10
	v_lshl_add_u64 v[14:15], v[10:11], 2, s[10:11]
	global_load_dword v14, v[14:15], off
	v_mov_b32_e32 v15, 0x200
	s_mov_b64 s[36:37], 0
                                        ; implicit-def: $sgpr30_sgpr31
                                        ; implicit-def: $sgpr38_sgpr39
                                        ; implicit-def: $sgpr40_sgpr41
	s_waitcnt vmcnt(0)
	v_mul_lo_u32 v21, v14, s62
	s_branch .LBB36_53
.LBB36_45:                              ;   in Loop: Header=BB36_53 Depth=3
	s_or_b64 exec, exec, s[60:61]
	s_orn2_b64 s[56:57], s[56:57], exec
	s_orn2_b64 s[58:59], s[58:59], exec
.LBB36_46:                              ;   in Loop: Header=BB36_53 Depth=3
	s_or_b64 exec, exec, s[54:55]
	s_and_b64 s[56:57], s[56:57], exec
	s_orn2_b64 s[54:55], s[58:59], exec
.LBB36_47:                              ;   in Loop: Header=BB36_53 Depth=3
	s_or_b64 exec, exec, s[52:53]
	s_orn2_b64 s[56:57], s[56:57], exec
	s_orn2_b64 s[52:53], s[54:55], exec
.LBB36_48:                              ;   in Loop: Header=BB36_53 Depth=3
	s_or_b64 exec, exec, s[50:51]
	s_and_b64 s[54:55], s[56:57], exec
	s_orn2_b64 s[50:51], s[52:53], exec
.LBB36_49:                              ;   in Loop: Header=BB36_53 Depth=3
	s_or_b64 exec, exec, s[48:49]
	s_orn2_b64 s[48:49], s[54:55], exec
	s_orn2_b64 s[50:51], s[50:51], exec
.LBB36_50:                              ;   in Loop: Header=BB36_53 Depth=3
	s_or_b64 exec, exec, s[46:47]
	s_and_b64 s[48:49], s[48:49], exec
	s_orn2_b64 s[46:47], s[50:51], exec
.LBB36_51:                              ;   in Loop: Header=BB36_53 Depth=3
	s_or_b64 exec, exec, s[44:45]
	s_andn2_b64 s[40:41], s[40:41], exec
	s_and_b64 s[44:45], s[48:49], exec
	s_or_b64 s[40:41], s[40:41], s[44:45]
	s_andn2_b64 s[38:39], s[38:39], exec
	s_and_b64 s[44:45], s[46:47], exec
	s_or_b64 s[38:39], s[38:39], s[44:45]
.LBB36_52:                              ;   in Loop: Header=BB36_53 Depth=3
	s_or_b64 exec, exec, s[42:43]
	s_and_b64 s[42:43], exec, s[38:39]
	s_or_b64 s[36:37], s[42:43], s[36:37]
	s_andn2_b64 s[30:31], s[30:31], exec
	s_and_b64 s[42:43], s[40:41], exec
	s_or_b64 s[30:31], s[30:31], s[42:43]
	s_andn2_b64 exec, exec, s[36:37]
	s_cbranch_execz .LBB36_62
.LBB36_53:                              ;   Parent Loop BB36_38 Depth=1
                                        ;     Parent Loop BB36_44 Depth=2
                                        ; =>    This Inner Loop Header: Depth=3
	v_and_b32_e32 v20, 0x1ff, v21
	v_lshl_add_u32 v22, v20, 2, v5
	ds_read_b32 v22, v22
	s_or_b64 s[40:41], s[40:41], exec
	s_or_b64 s[38:39], s[38:39], exec
	s_waitcnt lgkmcnt(0)
	v_cmp_ne_u32_e32 vcc, -1, v22
	s_and_saveexec_b64 s[42:43], vcc
	s_cbranch_execz .LBB36_52
; %bb.54:                               ;   in Loop: Header=BB36_53 Depth=3
	v_cmp_ne_u32_e32 vcc, v22, v14
	s_mov_b64 s[46:47], -1
	s_mov_b64 s[48:49], 0
	s_and_saveexec_b64 s[44:45], vcc
	s_cbranch_execz .LBB36_51
; %bb.55:                               ;   in Loop: Header=BB36_53 Depth=3
	v_add_u32_e32 v20, 1, v21
	v_and_b32_e32 v20, 0x1ff, v20
	v_lshl_add_u32 v22, v20, 2, v5
	ds_read_b32 v22, v22
	s_mov_b64 s[50:51], -1
	s_mov_b64 s[48:49], -1
	s_waitcnt lgkmcnt(0)
	v_cmp_ne_u32_e32 vcc, -1, v22
	s_and_saveexec_b64 s[46:47], vcc
	s_cbranch_execz .LBB36_50
; %bb.56:                               ;   in Loop: Header=BB36_53 Depth=3
	v_cmp_ne_u32_e32 vcc, v22, v14
	s_mov_b64 s[54:55], 0
	s_and_saveexec_b64 s[48:49], vcc
	s_cbranch_execz .LBB36_49
; %bb.57:                               ;   in Loop: Header=BB36_53 Depth=3
	v_add_u32_e32 v20, 2, v21
	v_and_b32_e32 v20, 0x1ff, v20
	v_lshl_add_u32 v22, v20, 2, v5
	ds_read_b32 v22, v22
	s_mov_b64 s[52:53], -1
	s_mov_b64 s[56:57], -1
	s_waitcnt lgkmcnt(0)
	v_cmp_ne_u32_e32 vcc, -1, v22
	s_and_saveexec_b64 s[50:51], vcc
	s_cbranch_execz .LBB36_48
; %bb.58:                               ;   in Loop: Header=BB36_53 Depth=3
	v_cmp_ne_u32_e32 vcc, v22, v14
	s_mov_b64 s[54:55], -1
	s_mov_b64 s[56:57], 0
	s_and_saveexec_b64 s[52:53], vcc
	s_cbranch_execz .LBB36_47
; %bb.59:                               ;   in Loop: Header=BB36_53 Depth=3
	v_add_u32_e32 v20, 3, v21
	v_and_b32_e32 v20, 0x1ff, v20
	v_lshl_add_u32 v21, v20, 2, v5
	ds_read_b32 v22, v21
	s_mov_b64 s[58:59], -1
	s_mov_b64 s[56:57], -1
                                        ; implicit-def: $vgpr21
	s_waitcnt lgkmcnt(0)
	v_cmp_ne_u32_e32 vcc, -1, v22
	s_and_saveexec_b64 s[54:55], vcc
	s_cbranch_execz .LBB36_46
; %bb.60:                               ;   in Loop: Header=BB36_53 Depth=3
	v_cmp_ne_u32_e32 vcc, v22, v14
	s_mov_b64 s[56:57], 0
                                        ; implicit-def: $vgpr21
	s_and_saveexec_b64 s[60:61], vcc
	s_cbranch_execz .LBB36_45
; %bb.61:                               ;   in Loop: Header=BB36_53 Depth=3
	v_add_u32_e32 v15, -4, v15
	v_cmp_eq_u32_e32 vcc, 0, v15
	s_mov_b64 s[56:57], exec
	v_add_u32_e32 v21, 1, v20
	s_orn2_b64 s[58:59], vcc, exec
	s_branch .LBB36_45
.LBB36_62:                              ;   in Loop: Header=BB36_44 Depth=2
	s_or_b64 exec, exec, s[36:37]
	s_xor_b64 s[30:31], s[30:31], -1
	s_and_saveexec_b64 s[36:37], s[30:31]
	s_xor_b64 s[30:31], exec, s[36:37]
	s_cbranch_execz .LBB36_43
; %bb.63:                               ;   in Loop: Header=BB36_44 Depth=2
	v_lshl_add_u32 v14, v20, 2, v18
	ds_read_b32 v14, v14
	v_lshl_add_u64 v[20:21], v[10:11], 3, s[12:13]
	s_waitcnt lgkmcnt(0)
	v_ashrrev_i32_e32 v15, 31, v14
	v_lshl_add_u64 v[14:15], v[14:15], 3, s[12:13]
	global_load_dwordx2 v[22:23], v[20:21], off
	global_load_dwordx2 v[24:25], v[14:15], off
	s_waitcnt vmcnt(0)
	v_pk_fma_f32 v[20:21], v[8:9], v[22:23], v[24:25] op_sel_hi:[1,0,1] neg_lo:[1,0,0] neg_hi:[1,0,0]
	s_nop 0
	v_pk_fma_f32 v[20:21], v[12:13], v[22:23], v[20:21] op_sel:[0,1,0]
	global_store_dwordx2 v[14:15], v[20:21], off
	s_branch .LBB36_43
.LBB36_64:
	s_or_b64 exec, exec, s[4:5]
	v_cmp_lt_i32_e32 vcc, -1, v4
	s_and_saveexec_b64 s[8:9], vcc
	s_cbranch_execz .LBB36_86
; %bb.65:
	v_mov_b32_e32 v5, 0
	v_lshl_add_u64 v[8:9], v[4:5], 3, s[12:13]
	global_load_dwordx2 v[6:7], v[8:9], off
	s_waitcnt vmcnt(0)
	v_cmp_gt_f32_e32 vcc, 0, v6
	s_nop 1
	v_cndmask_b32_e64 v4, v6, -v6, vcc
	v_cmp_gt_f32_e32 vcc, 0, v7
	s_nop 1
	v_cndmask_b32_e64 v10, v7, -v7, vcc
	v_cmp_ngt_f32_e32 vcc, v4, v10
	s_and_saveexec_b64 s[2:3], vcc
	s_xor_b64 s[4:5], exec, s[2:3]
	s_cbranch_execz .LBB36_69
; %bb.66:
	v_cmp_neq_f32_e32 vcc, 0, v7
	s_and_saveexec_b64 s[10:11], vcc
	s_cbranch_execz .LBB36_68
; %bb.67:
	v_div_scale_f32 v5, s[2:3], v10, v10, v4
	v_rcp_f32_e32 v11, v5
	v_div_scale_f32 v12, vcc, v4, v10, v4
	s_mov_b32 s2, 0xf800000
	v_fma_f32 v13, -v5, v11, 1.0
	v_fmac_f32_e32 v11, v13, v11
	v_mul_f32_e32 v13, v12, v11
	v_fma_f32 v14, -v5, v13, v12
	v_fmac_f32_e32 v13, v14, v11
	v_fma_f32 v5, -v5, v13, v12
	v_div_fmas_f32 v5, v5, v11, v13
	v_div_fixup_f32 v4, v5, v10, v4
	v_fma_f32 v4, v4, v4, 1.0
	v_mul_f32_e32 v5, 0x4f800000, v4
	v_cmp_gt_f32_e32 vcc, s2, v4
	s_nop 1
	v_cndmask_b32_e32 v4, v4, v5, vcc
	v_sqrt_f32_e32 v5, v4
	s_nop 0
	v_add_u32_e32 v11, -1, v5
	v_fma_f32 v12, -v11, v5, v4
	v_cmp_ge_f32_e64 s[2:3], 0, v12
	v_add_u32_e32 v12, 1, v5
	s_nop 0
	v_cndmask_b32_e64 v11, v5, v11, s[2:3]
	v_fma_f32 v5, -v12, v5, v4
	v_cmp_lt_f32_e64 s[2:3], 0, v5
	s_nop 1
	v_cndmask_b32_e64 v5, v11, v12, s[2:3]
	v_mul_f32_e32 v11, 0x37800000, v5
	v_cndmask_b32_e32 v5, v5, v11, vcc
	v_mov_b32_e32 v11, 0x260
	v_cmp_class_f32_e32 vcc, v4, v11
	s_nop 1
	v_cndmask_b32_e32 v4, v5, v4, vcc
	v_mul_f32_e32 v5, v10, v4
.LBB36_68:
	s_or_b64 exec, exec, s[10:11]
                                        ; implicit-def: $vgpr4
                                        ; implicit-def: $vgpr10
.LBB36_69:
	s_andn2_saveexec_b64 s[4:5], s[4:5]
	s_cbranch_execz .LBB36_71
; %bb.70:
	v_div_scale_f32 v5, s[2:3], v4, v4, v10
	v_rcp_f32_e32 v11, v5
	v_div_scale_f32 v12, vcc, v10, v4, v10
	s_mov_b32 s2, 0xf800000
	v_fma_f32 v13, -v5, v11, 1.0
	v_fmac_f32_e32 v11, v13, v11
	v_mul_f32_e32 v13, v12, v11
	v_fma_f32 v14, -v5, v13, v12
	v_fmac_f32_e32 v13, v14, v11
	v_fma_f32 v5, -v5, v13, v12
	v_div_fmas_f32 v5, v5, v11, v13
	v_div_fixup_f32 v5, v5, v4, v10
	v_fma_f32 v5, v5, v5, 1.0
	v_mul_f32_e32 v10, 0x4f800000, v5
	v_cmp_gt_f32_e32 vcc, s2, v5
	s_nop 1
	v_cndmask_b32_e32 v5, v5, v10, vcc
	v_sqrt_f32_e32 v10, v5
	s_nop 0
	v_add_u32_e32 v11, -1, v10
	v_fma_f32 v12, -v11, v10, v5
	v_cmp_ge_f32_e64 s[2:3], 0, v12
	v_add_u32_e32 v12, 1, v10
	s_nop 0
	v_cndmask_b32_e64 v11, v10, v11, s[2:3]
	v_fma_f32 v10, -v12, v10, v5
	v_cmp_lt_f32_e64 s[2:3], 0, v10
	s_nop 1
	v_cndmask_b32_e64 v10, v11, v12, s[2:3]
	v_mul_f32_e32 v11, 0x37800000, v10
	v_cndmask_b32_e32 v10, v10, v11, vcc
	v_mov_b32_e32 v11, 0x260
	v_cmp_class_f32_e32 vcc, v5, v11
	s_nop 1
	v_cndmask_b32_e32 v5, v10, v5, vcc
	v_mul_f32_e32 v5, v4, v5
.LBB36_71:
	s_or_b64 exec, exec, s[4:5]
	v_cvt_f64_f32_e32 v[4:5], v5
	v_cmp_eq_u32_e64 s[4:5], 0, v16
	s_and_b64 vcc, exec, s[6:7]
	s_mov_b64 s[2:3], -1
	s_cbranch_vccnz .LBB36_75
; %bb.72:
	s_cmp_eq_u64 s[24:25], 8
	v_cvt_f64_f32_e32 v[10:11], v17
	s_cselect_b64 vcc, -1, 0
	v_cndmask_b32_e32 v3, v11, v3, vcc
	v_cndmask_b32_e32 v2, v10, v2, vcc
	v_cmp_ge_f64_e32 vcc, v[2:3], v[4:5]
	s_and_b64 s[6:7], s[4:5], vcc
	s_and_saveexec_b64 s[2:3], s[6:7]
	s_cbranch_execz .LBB36_74
; %bb.73:
	v_mov_b32_e32 v2, s33
	v_mov_b32_e32 v3, s35
	global_store_dwordx2 v[8:9], v[2:3], off
	buffer_wbl2 sc1
	s_waitcnt vmcnt(0)
	buffer_inv sc1
.LBB36_74:
	s_or_b64 exec, exec, s[2:3]
	s_mov_b64 s[2:3], 0
.LBB36_75:
	s_andn2_b64 vcc, exec, s[2:3]
	s_cbranch_vccnz .LBB36_86
; %bb.76:
	s_load_dwordx2 s[0:1], s[0:1], 0x48
	v_add_u32_e32 v2, s34, v0
	s_waitcnt lgkmcnt(0)
	v_cmp_ge_f64_e32 vcc, s[0:1], v[4:5]
	s_and_b64 s[2:3], s[4:5], vcc
	s_and_saveexec_b64 s[0:1], s[2:3]
	s_cbranch_execz .LBB36_81
; %bb.77:
	s_mov_b64 s[2:3], exec
	s_brev_b32 s6, -2
.LBB36_78:                              ; =>This Inner Loop Header: Depth=1
	s_ff1_i32_b64 s7, s[2:3]
	v_readlane_b32 s12, v2, s7
	s_lshl_b64 s[10:11], 1, s7
	s_min_i32 s6, s6, s12
	s_andn2_b64 s[2:3], s[2:3], s[10:11]
	s_cmp_lg_u64 s[2:3], 0
	s_cbranch_scc1 .LBB36_78
; %bb.79:
	v_mbcnt_lo_u32_b32 v3, exec_lo, 0
	v_mbcnt_hi_u32_b32 v3, exec_hi, v3
	v_cmp_eq_u32_e32 vcc, 0, v3
	s_and_saveexec_b64 s[2:3], vcc
	s_xor_b64 s[2:3], exec, s[2:3]
	s_cbranch_execz .LBB36_81
; %bb.80:
	v_mov_b32_e32 v3, 0
	v_mov_b32_e32 v4, s6
	global_atomic_smin v3, v4, s[22:23]
.LBB36_81:
	s_or_b64 exec, exec, s[0:1]
	v_cmp_eq_f32_e32 vcc, 0, v6
	v_cmp_eq_f32_e64 s[0:1], 0, v7
	s_and_b64 s[0:1], vcc, s[0:1]
	s_and_b64 s[0:1], s[4:5], s[0:1]
	s_and_b64 exec, exec, s[0:1]
	s_cbranch_execz .LBB36_86
; %bb.82:
	s_mov_b64 s[0:1], exec
	s_brev_b32 s2, -2
.LBB36_83:                              ; =>This Inner Loop Header: Depth=1
	s_ff1_i32_b64 s3, s[0:1]
	v_readlane_b32 s6, v2, s3
	s_lshl_b64 s[4:5], 1, s3
	s_min_i32 s2, s2, s6
	s_andn2_b64 s[0:1], s[0:1], s[4:5]
	s_cmp_lg_u64 s[0:1], 0
	s_cbranch_scc1 .LBB36_83
; %bb.84:
	v_mbcnt_lo_u32_b32 v2, exec_lo, 0
	v_mbcnt_hi_u32_b32 v2, exec_hi, v2
	v_cmp_eq_u32_e32 vcc, 0, v2
	s_and_saveexec_b64 s[0:1], vcc
	s_xor_b64 s[0:1], exec, s[0:1]
	s_cbranch_execz .LBB36_86
; %bb.85:
	v_mov_b32_e32 v2, 0
	v_mov_b32_e32 v3, s2
	global_atomic_smin v2, v3, s[20:21]
.LBB36_86:
	s_or_b64 exec, exec, s[8:9]
	v_cmp_eq_u32_e32 vcc, 0, v16
	buffer_wbl2 sc1
	s_waitcnt vmcnt(0)
	buffer_inv sc1
	s_and_b64 exec, exec, vcc
	s_cbranch_execz .LBB36_88
; %bb.87:
	v_lshl_add_u64 v[0:1], v[0:1], 2, s[16:17]
	v_mov_b32_e32 v2, 1
	buffer_wbl2 sc1
	global_store_dword v[0:1], v2, off sc1
.LBB36_88:
	s_endpgm
	.section	.rodata,"a",@progbits
	.p2align	6, 0x0
	.amdhsa_kernel _ZN9rocsparseL12csrilu0_hashILj256ELj64ELj8E21rocsparse_complex_numIfEEEviPKiS4_PT2_S4_PiS4_S7_S7_d21rocsparse_index_base_imNS_24const_host_device_scalarIfEENS9_IdEENS9_IS5_EEb
		.amdhsa_group_segment_fixed_size 16384
		.amdhsa_private_segment_fixed_size 0
		.amdhsa_kernarg_size 124
		.amdhsa_user_sgpr_count 2
		.amdhsa_user_sgpr_dispatch_ptr 0
		.amdhsa_user_sgpr_queue_ptr 0
		.amdhsa_user_sgpr_kernarg_segment_ptr 1
		.amdhsa_user_sgpr_dispatch_id 0
		.amdhsa_user_sgpr_kernarg_preload_length 0
		.amdhsa_user_sgpr_kernarg_preload_offset 0
		.amdhsa_user_sgpr_private_segment_size 0
		.amdhsa_uses_dynamic_stack 0
		.amdhsa_enable_private_segment 0
		.amdhsa_system_sgpr_workgroup_id_x 1
		.amdhsa_system_sgpr_workgroup_id_y 0
		.amdhsa_system_sgpr_workgroup_id_z 0
		.amdhsa_system_sgpr_workgroup_info 0
		.amdhsa_system_vgpr_workitem_id 0
		.amdhsa_next_free_vgpr 26
		.amdhsa_next_free_sgpr 63
		.amdhsa_accum_offset 28
		.amdhsa_reserve_vcc 1
		.amdhsa_float_round_mode_32 0
		.amdhsa_float_round_mode_16_64 0
		.amdhsa_float_denorm_mode_32 3
		.amdhsa_float_denorm_mode_16_64 3
		.amdhsa_dx10_clamp 1
		.amdhsa_ieee_mode 1
		.amdhsa_fp16_overflow 0
		.amdhsa_tg_split 0
		.amdhsa_exception_fp_ieee_invalid_op 0
		.amdhsa_exception_fp_denorm_src 0
		.amdhsa_exception_fp_ieee_div_zero 0
		.amdhsa_exception_fp_ieee_overflow 0
		.amdhsa_exception_fp_ieee_underflow 0
		.amdhsa_exception_fp_ieee_inexact 0
		.amdhsa_exception_int_div_zero 0
	.end_amdhsa_kernel
	.section	.text._ZN9rocsparseL12csrilu0_hashILj256ELj64ELj8E21rocsparse_complex_numIfEEEviPKiS4_PT2_S4_PiS4_S7_S7_d21rocsparse_index_base_imNS_24const_host_device_scalarIfEENS9_IdEENS9_IS5_EEb,"axG",@progbits,_ZN9rocsparseL12csrilu0_hashILj256ELj64ELj8E21rocsparse_complex_numIfEEEviPKiS4_PT2_S4_PiS4_S7_S7_d21rocsparse_index_base_imNS_24const_host_device_scalarIfEENS9_IdEENS9_IS5_EEb,comdat
.Lfunc_end36:
	.size	_ZN9rocsparseL12csrilu0_hashILj256ELj64ELj8E21rocsparse_complex_numIfEEEviPKiS4_PT2_S4_PiS4_S7_S7_d21rocsparse_index_base_imNS_24const_host_device_scalarIfEENS9_IdEENS9_IS5_EEb, .Lfunc_end36-_ZN9rocsparseL12csrilu0_hashILj256ELj64ELj8E21rocsparse_complex_numIfEEEviPKiS4_PT2_S4_PiS4_S7_S7_d21rocsparse_index_base_imNS_24const_host_device_scalarIfEENS9_IdEENS9_IS5_EEb
                                        ; -- End function
	.set _ZN9rocsparseL12csrilu0_hashILj256ELj64ELj8E21rocsparse_complex_numIfEEEviPKiS4_PT2_S4_PiS4_S7_S7_d21rocsparse_index_base_imNS_24const_host_device_scalarIfEENS9_IdEENS9_IS5_EEb.num_vgpr, 26
	.set _ZN9rocsparseL12csrilu0_hashILj256ELj64ELj8E21rocsparse_complex_numIfEEEviPKiS4_PT2_S4_PiS4_S7_S7_d21rocsparse_index_base_imNS_24const_host_device_scalarIfEENS9_IdEENS9_IS5_EEb.num_agpr, 0
	.set _ZN9rocsparseL12csrilu0_hashILj256ELj64ELj8E21rocsparse_complex_numIfEEEviPKiS4_PT2_S4_PiS4_S7_S7_d21rocsparse_index_base_imNS_24const_host_device_scalarIfEENS9_IdEENS9_IS5_EEb.numbered_sgpr, 63
	.set _ZN9rocsparseL12csrilu0_hashILj256ELj64ELj8E21rocsparse_complex_numIfEEEviPKiS4_PT2_S4_PiS4_S7_S7_d21rocsparse_index_base_imNS_24const_host_device_scalarIfEENS9_IdEENS9_IS5_EEb.num_named_barrier, 0
	.set _ZN9rocsparseL12csrilu0_hashILj256ELj64ELj8E21rocsparse_complex_numIfEEEviPKiS4_PT2_S4_PiS4_S7_S7_d21rocsparse_index_base_imNS_24const_host_device_scalarIfEENS9_IdEENS9_IS5_EEb.private_seg_size, 0
	.set _ZN9rocsparseL12csrilu0_hashILj256ELj64ELj8E21rocsparse_complex_numIfEEEviPKiS4_PT2_S4_PiS4_S7_S7_d21rocsparse_index_base_imNS_24const_host_device_scalarIfEENS9_IdEENS9_IS5_EEb.uses_vcc, 1
	.set _ZN9rocsparseL12csrilu0_hashILj256ELj64ELj8E21rocsparse_complex_numIfEEEviPKiS4_PT2_S4_PiS4_S7_S7_d21rocsparse_index_base_imNS_24const_host_device_scalarIfEENS9_IdEENS9_IS5_EEb.uses_flat_scratch, 0
	.set _ZN9rocsparseL12csrilu0_hashILj256ELj64ELj8E21rocsparse_complex_numIfEEEviPKiS4_PT2_S4_PiS4_S7_S7_d21rocsparse_index_base_imNS_24const_host_device_scalarIfEENS9_IdEENS9_IS5_EEb.has_dyn_sized_stack, 0
	.set _ZN9rocsparseL12csrilu0_hashILj256ELj64ELj8E21rocsparse_complex_numIfEEEviPKiS4_PT2_S4_PiS4_S7_S7_d21rocsparse_index_base_imNS_24const_host_device_scalarIfEENS9_IdEENS9_IS5_EEb.has_recursion, 0
	.set _ZN9rocsparseL12csrilu0_hashILj256ELj64ELj8E21rocsparse_complex_numIfEEEviPKiS4_PT2_S4_PiS4_S7_S7_d21rocsparse_index_base_imNS_24const_host_device_scalarIfEENS9_IdEENS9_IS5_EEb.has_indirect_call, 0
	.section	.AMDGPU.csdata,"",@progbits
; Kernel info:
; codeLenInByte = 3124
; TotalNumSgprs: 69
; NumVgprs: 26
; NumAgprs: 0
; TotalNumVgprs: 26
; ScratchSize: 0
; MemoryBound: 0
; FloatMode: 240
; IeeeMode: 1
; LDSByteSize: 16384 bytes/workgroup (compile time only)
; SGPRBlocks: 8
; VGPRBlocks: 3
; NumSGPRsForWavesPerEU: 69
; NumVGPRsForWavesPerEU: 26
; AccumOffset: 28
; Occupancy: 8
; WaveLimiterHint : 1
; COMPUTE_PGM_RSRC2:SCRATCH_EN: 0
; COMPUTE_PGM_RSRC2:USER_SGPR: 2
; COMPUTE_PGM_RSRC2:TRAP_HANDLER: 0
; COMPUTE_PGM_RSRC2:TGID_X_EN: 1
; COMPUTE_PGM_RSRC2:TGID_Y_EN: 0
; COMPUTE_PGM_RSRC2:TGID_Z_EN: 0
; COMPUTE_PGM_RSRC2:TIDIG_COMP_CNT: 0
; COMPUTE_PGM_RSRC3_GFX90A:ACCUM_OFFSET: 6
; COMPUTE_PGM_RSRC3_GFX90A:TG_SPLIT: 0
	.section	.text._ZN9rocsparseL12csrilu0_hashILj256ELj64ELj16E21rocsparse_complex_numIfEEEviPKiS4_PT2_S4_PiS4_S7_S7_d21rocsparse_index_base_imNS_24const_host_device_scalarIfEENS9_IdEENS9_IS5_EEb,"axG",@progbits,_ZN9rocsparseL12csrilu0_hashILj256ELj64ELj16E21rocsparse_complex_numIfEEEviPKiS4_PT2_S4_PiS4_S7_S7_d21rocsparse_index_base_imNS_24const_host_device_scalarIfEENS9_IdEENS9_IS5_EEb,comdat
	.globl	_ZN9rocsparseL12csrilu0_hashILj256ELj64ELj16E21rocsparse_complex_numIfEEEviPKiS4_PT2_S4_PiS4_S7_S7_d21rocsparse_index_base_imNS_24const_host_device_scalarIfEENS9_IdEENS9_IS5_EEb ; -- Begin function _ZN9rocsparseL12csrilu0_hashILj256ELj64ELj16E21rocsparse_complex_numIfEEEviPKiS4_PT2_S4_PiS4_S7_S7_d21rocsparse_index_base_imNS_24const_host_device_scalarIfEENS9_IdEENS9_IS5_EEb
	.p2align	8
	.type	_ZN9rocsparseL12csrilu0_hashILj256ELj64ELj16E21rocsparse_complex_numIfEEEviPKiS4_PT2_S4_PiS4_S7_S7_d21rocsparse_index_base_imNS_24const_host_device_scalarIfEENS9_IdEENS9_IS5_EEb,@function
_ZN9rocsparseL12csrilu0_hashILj256ELj64ELj16E21rocsparse_complex_numIfEEEviPKiS4_PT2_S4_PiS4_S7_S7_d21rocsparse_index_base_imNS_24const_host_device_scalarIfEENS9_IdEENS9_IS5_EEb: ; @_ZN9rocsparseL12csrilu0_hashILj256ELj64ELj16E21rocsparse_complex_numIfEEEviPKiS4_PT2_S4_PiS4_S7_S7_d21rocsparse_index_base_imNS_24const_host_device_scalarIfEENS9_IdEENS9_IS5_EEb
; %bb.0:
	s_load_dword s3, s[0:1], 0x78
	s_load_dwordx2 s[34:35], s[0:1], 0x50
	s_load_dwordx8 s[24:31], s[0:1], 0x58
	s_waitcnt lgkmcnt(0)
	s_bitcmp1_b32 s3, 0
	s_cselect_b64 s[4:5], -1, 0
	s_cmp_eq_u32 s35, 0
	s_cselect_b64 s[12:13], -1, 0
	s_cmp_lg_u32 s35, 0
	s_cselect_b64 s[8:9], -1, 0
	s_or_b64 s[14:15], s[12:13], s[4:5]
	s_xor_b64 s[6:7], s[14:15], -1
	s_and_b64 s[10:11], s[12:13], exec
	s_cselect_b32 s11, 0, s29
	s_cselect_b32 s10, 0, s28
	s_and_b64 vcc, exec, s[14:15]
	s_cbranch_vccnz .LBB37_2
; %bb.1:
	s_load_dword s3, s[26:27], 0x0
	s_mov_b64 s[10:11], s[28:29]
	s_waitcnt lgkmcnt(0)
	v_mov_b32_e32 v17, s3
	s_andn2_b64 vcc, exec, s[6:7]
	v_mov_b64_e32 v[4:5], s[10:11]
	s_cbranch_vccz .LBB37_3
	s_branch .LBB37_4
.LBB37_2:
	v_mov_b32_e32 v1, s26
	v_cndmask_b32_e64 v17, v1, 0, s[12:13]
	s_andn2_b64 vcc, exec, s[6:7]
	v_mov_b64_e32 v[4:5], s[10:11]
	s_cbranch_vccnz .LBB37_4
.LBB37_3:
	v_mov_b64_e32 v[2:3], s[28:29]
	flat_load_dwordx2 v[4:5], v[2:3]
.LBB37_4:
	v_cndmask_b32_e64 v1, 0, 1, s[8:9]
	s_mov_b32 s33, 0
	v_cmp_ne_u32_e64 s[6:7], 1, v1
	s_andn2_b64 vcc, exec, s[8:9]
	s_mov_b32 s35, 0
	s_cbranch_vccnz .LBB37_10
; %bb.5:
	s_xor_b64 s[8:9], s[4:5], -1
	v_cndmask_b32_e64 v1, 0, 1, s[8:9]
	v_cmp_ne_u32_e64 s[4:5], 1, v1
	s_andn2_b64 vcc, exec, s[8:9]
	s_mov_b32 s33, s30
	s_cbranch_vccnz .LBB37_7
; %bb.6:
	s_load_dword s33, s[30:31], 0x0
.LBB37_7:
	s_and_b64 vcc, exec, s[4:5]
	s_cbranch_vccnz .LBB37_9
; %bb.8:
	s_load_dword s31, s[30:31], 0x4
.LBB37_9:
	s_waitcnt lgkmcnt(0)
	s_mov_b32 s35, s31
.LBB37_10:
	v_and_b32_e32 v16, 63, v0
	v_lshrrev_b32_e32 v1, 6, v0
	v_lshlrev_b32_e32 v3, 12, v1
	v_lshlrev_b32_e32 v6, 2, v16
	s_movk_i32 s3, 0x4000
	v_or_b32_e32 v2, 0xffffffc0, v16
	v_or3_b32 v3, v3, v6, s3
	s_mov_b64 s[4:5], 0
	v_mov_b32_e32 v6, -1
	s_movk_i32 s3, 0x3bf
.LBB37_11:                              ; =>This Inner Loop Header: Depth=1
	v_add_u32_e32 v2, 64, v2
	v_cmp_lt_u32_e32 vcc, s3, v2
	ds_write_b32 v3, v6
	s_or_b64 s[4:5], vcc, s[4:5]
	v_add_u32_e32 v3, 0x100, v3
	s_andn2_b64 exec, exec, s[4:5]
	s_cbranch_execnz .LBB37_11
; %bb.12:
	s_or_b64 exec, exec, s[4:5]
	s_load_dword s3, s[0:1], 0x0
	s_lshl_b32 s2, s2, 2
	s_and_b32 s2, s2, 0x3fffffc
	v_or_b32_e32 v1, s2, v1
	s_waitcnt lgkmcnt(0)
	v_cmp_gt_i32_e32 vcc, s3, v1
	s_and_saveexec_b64 s[2:3], vcc
	s_cbranch_execz .LBB37_90
; %bb.13:
	s_load_dwordx16 s[8:23], s[0:1], 0x8
	v_lshlrev_b32_e32 v1, 2, v1
	v_lshlrev_b32_e32 v0, 6, v0
	s_waitcnt lgkmcnt(0)
	global_load_dword v2, v1, s[18:19]
	s_waitcnt vmcnt(0)
	v_ashrrev_i32_e32 v3, 31, v2
	v_lshlrev_b64 v[6:7], 2, v[2:3]
	v_lshl_add_u64 v[8:9], s[8:9], 0, v[6:7]
	global_load_dwordx2 v[8:9], v[8:9], off
	v_lshl_add_u64 v[6:7], s[14:15], 0, v[6:7]
	global_load_dword v6, v[6:7], off
	v_and_b32_e32 v7, 0x3000, v0
	v_or_b32_e32 v18, 0x4000, v7
	s_waitcnt vmcnt(1)
	v_subrev_u32_e32 v0, s34, v8
	v_subrev_u32_e32 v1, s34, v9
	v_add_u32_e32 v8, v0, v16
	v_cmp_lt_i32_e32 vcc, v8, v1
	s_and_saveexec_b64 s[2:3], vcc
	s_cbranch_execz .LBB37_36
; %bb.14:
	s_mov_b64 s[4:5], 0
	s_movk_i32 s56, 0x67
	v_mov_b32_e32 v10, -1
	s_branch .LBB37_16
.LBB37_15:                              ;   in Loop: Header=BB37_16 Depth=1
	s_or_b64 exec, exec, s[18:19]
	v_add_u32_e32 v8, 64, v8
	v_cmp_ge_i32_e32 vcc, v8, v1
	s_or_b64 s[4:5], vcc, s[4:5]
	s_andn2_b64 exec, exec, s[4:5]
	s_cbranch_execz .LBB37_36
.LBB37_16:                              ; =>This Loop Header: Depth=1
                                        ;     Child Loop BB37_25 Depth 2
	v_ashrrev_i32_e32 v9, 31, v8
	v_lshl_add_u64 v[12:13], v[8:9], 2, s[10:11]
	global_load_dword v9, v[12:13], off
	v_mov_b32_e32 v11, 0x400
	s_mov_b64 s[26:27], 0
                                        ; implicit-def: $sgpr18_sgpr19
                                        ; implicit-def: $sgpr28_sgpr29
                                        ; implicit-def: $sgpr30_sgpr31
	s_waitcnt vmcnt(0)
	v_mul_lo_u32 v13, v9, s56
	s_branch .LBB37_25
.LBB37_17:                              ;   in Loop: Header=BB37_25 Depth=2
	s_or_b64 exec, exec, s[54:55]
	s_orn2_b64 s[50:51], s[50:51], exec
	s_orn2_b64 s[52:53], s[52:53], exec
.LBB37_18:                              ;   in Loop: Header=BB37_25 Depth=2
	s_or_b64 exec, exec, s[48:49]
	s_and_b64 s[50:51], s[50:51], exec
	s_orn2_b64 s[48:49], s[52:53], exec
.LBB37_19:                              ;   in Loop: Header=BB37_25 Depth=2
	s_or_b64 exec, exec, s[46:47]
	s_orn2_b64 s[50:51], s[50:51], exec
	s_orn2_b64 s[46:47], s[48:49], exec
.LBB37_20:                              ;   in Loop: Header=BB37_25 Depth=2
	s_or_b64 exec, exec, s[44:45]
	s_and_b64 s[48:49], s[50:51], exec
	s_orn2_b64 s[44:45], s[46:47], exec
.LBB37_21:                              ;   in Loop: Header=BB37_25 Depth=2
	s_or_b64 exec, exec, s[42:43]
	s_orn2_b64 s[42:43], s[48:49], exec
	s_orn2_b64 s[44:45], s[44:45], exec
.LBB37_22:                              ;   in Loop: Header=BB37_25 Depth=2
	s_or_b64 exec, exec, s[40:41]
	s_and_b64 s[42:43], s[42:43], exec
	s_orn2_b64 s[40:41], s[44:45], exec
.LBB37_23:                              ;   in Loop: Header=BB37_25 Depth=2
	s_or_b64 exec, exec, s[38:39]
	s_andn2_b64 s[30:31], s[30:31], exec
	s_and_b64 s[38:39], s[42:43], exec
	s_or_b64 s[30:31], s[30:31], s[38:39]
	s_andn2_b64 s[28:29], s[28:29], exec
	s_and_b64 s[38:39], s[40:41], exec
	s_or_b64 s[28:29], s[28:29], s[38:39]
.LBB37_24:                              ;   in Loop: Header=BB37_25 Depth=2
	s_or_b64 exec, exec, s[36:37]
	s_and_b64 s[36:37], exec, s[28:29]
	s_or_b64 s[26:27], s[36:37], s[26:27]
	s_andn2_b64 s[18:19], s[18:19], exec
	s_and_b64 s[36:37], s[30:31], exec
	s_or_b64 s[18:19], s[18:19], s[36:37]
	s_andn2_b64 exec, exec, s[26:27]
	s_cbranch_execz .LBB37_34
.LBB37_25:                              ;   Parent Loop BB37_16 Depth=1
                                        ; =>  This Inner Loop Header: Depth=2
	v_and_b32_e32 v12, 0x3ff, v13
	v_lshl_add_u32 v14, v12, 2, v18
	ds_read_b32 v15, v14
	s_or_b64 s[30:31], s[30:31], exec
	s_or_b64 s[28:29], s[28:29], exec
	s_waitcnt lgkmcnt(0)
	v_cmp_ne_u32_e32 vcc, v15, v9
	s_and_saveexec_b64 s[36:37], vcc
	s_cbranch_execz .LBB37_24
; %bb.26:                               ;   in Loop: Header=BB37_25 Depth=2
	ds_cmpst_rtn_b32 v14, v14, v10, v9
	s_mov_b64 s[40:41], -1
	s_mov_b64 s[42:43], 0
	s_waitcnt lgkmcnt(0)
	v_cmp_ne_u32_e32 vcc, -1, v14
	s_and_saveexec_b64 s[38:39], vcc
	s_cbranch_execz .LBB37_23
; %bb.27:                               ;   in Loop: Header=BB37_25 Depth=2
	v_add_u32_e32 v12, 1, v13
	v_and_b32_e32 v12, 0x3ff, v12
	v_lshl_add_u32 v14, v12, 2, v18
	ds_read_b32 v15, v14
	s_mov_b64 s[44:45], -1
	s_mov_b64 s[42:43], -1
	s_waitcnt lgkmcnt(0)
	v_cmp_ne_u32_e32 vcc, v15, v9
	s_and_saveexec_b64 s[40:41], vcc
	s_cbranch_execz .LBB37_22
; %bb.28:                               ;   in Loop: Header=BB37_25 Depth=2
	ds_cmpst_rtn_b32 v14, v14, v10, v9
	s_mov_b64 s[48:49], 0
	s_waitcnt lgkmcnt(0)
	v_cmp_ne_u32_e32 vcc, -1, v14
	s_and_saveexec_b64 s[42:43], vcc
	s_cbranch_execz .LBB37_21
; %bb.29:                               ;   in Loop: Header=BB37_25 Depth=2
	v_add_u32_e32 v12, 2, v13
	v_and_b32_e32 v12, 0x3ff, v12
	v_lshl_add_u32 v14, v12, 2, v18
	ds_read_b32 v15, v14
	s_mov_b64 s[46:47], -1
	s_mov_b64 s[50:51], -1
	s_waitcnt lgkmcnt(0)
	v_cmp_ne_u32_e32 vcc, v15, v9
	s_and_saveexec_b64 s[44:45], vcc
	s_cbranch_execz .LBB37_20
; %bb.30:                               ;   in Loop: Header=BB37_25 Depth=2
	ds_cmpst_rtn_b32 v14, v14, v10, v9
	s_mov_b64 s[48:49], -1
	s_mov_b64 s[50:51], 0
	s_waitcnt lgkmcnt(0)
	v_cmp_ne_u32_e32 vcc, -1, v14
	s_and_saveexec_b64 s[46:47], vcc
	s_cbranch_execz .LBB37_19
; %bb.31:                               ;   in Loop: Header=BB37_25 Depth=2
	v_add_u32_e32 v12, 3, v13
	v_and_b32_e32 v12, 0x3ff, v12
	v_lshl_add_u32 v14, v12, 2, v18
	ds_read_b32 v13, v14
	s_mov_b64 s[52:53], -1
	s_mov_b64 s[50:51], -1
	s_waitcnt lgkmcnt(0)
	v_cmp_ne_u32_e32 vcc, v13, v9
                                        ; implicit-def: $vgpr13
	s_and_saveexec_b64 s[48:49], vcc
	s_cbranch_execz .LBB37_18
; %bb.32:                               ;   in Loop: Header=BB37_25 Depth=2
	ds_cmpst_rtn_b32 v13, v14, v10, v9
	s_mov_b64 s[50:51], 0
	s_waitcnt lgkmcnt(0)
	v_cmp_ne_u32_e32 vcc, -1, v13
                                        ; implicit-def: $vgpr13
	s_and_saveexec_b64 s[54:55], vcc
	s_cbranch_execz .LBB37_17
; %bb.33:                               ;   in Loop: Header=BB37_25 Depth=2
	v_add_u32_e32 v11, -4, v11
	v_cmp_eq_u32_e32 vcc, 0, v11
	s_mov_b64 s[50:51], exec
	v_add_u32_e32 v13, 1, v12
	s_orn2_b64 s[52:53], vcc, exec
	s_branch .LBB37_17
.LBB37_34:                              ;   in Loop: Header=BB37_16 Depth=1
	s_or_b64 exec, exec, s[26:27]
	s_xor_b64 s[18:19], s[18:19], -1
	s_and_saveexec_b64 s[26:27], s[18:19]
	s_xor_b64 s[18:19], exec, s[26:27]
	s_cbranch_execz .LBB37_15
; %bb.35:                               ;   in Loop: Header=BB37_16 Depth=1
	v_lshl_add_u32 v9, v12, 2, v7
	ds_write_b32 v9, v8
	s_branch .LBB37_15
.LBB37_36:
	s_or_b64 exec, exec, s[2:3]
	s_waitcnt vmcnt(0)
	v_cmp_lt_i32_e32 vcc, v0, v6
	s_waitcnt lgkmcnt(0)
	s_and_saveexec_b64 s[4:5], vcc
	s_cbranch_execz .LBB37_66
; %bb.37:
	v_add_u32_e32 v19, 1, v16
	s_mov_b64 s[18:19], 0
	s_movk_i32 s62, 0x67
	s_branch .LBB37_40
.LBB37_38:                              ;   in Loop: Header=BB37_40 Depth=1
	s_or_b64 exec, exec, s[26:27]
	v_add_u32_e32 v0, 1, v0
	v_cmp_ge_i32_e32 vcc, v0, v6
	s_orn2_b64 s[26:27], vcc, exec
.LBB37_39:                              ;   in Loop: Header=BB37_40 Depth=1
	s_or_b64 exec, exec, s[2:3]
	s_and_b64 s[2:3], exec, s[26:27]
	s_or_b64 s[18:19], s[2:3], s[18:19]
	s_andn2_b64 exec, exec, s[18:19]
	s_cbranch_execz .LBB37_66
.LBB37_40:                              ; =>This Loop Header: Depth=1
                                        ;     Child Loop BB37_41 Depth 2
                                        ;     Child Loop BB37_46 Depth 2
                                        ;       Child Loop BB37_55 Depth 3
	v_ashrrev_i32_e32 v1, 31, v0
	v_lshl_add_u64 v[8:9], v[0:1], 2, s[10:11]
	global_load_dword v12, v[8:9], off
	v_lshl_add_u64 v[10:11], v[0:1], 3, s[12:13]
	global_load_dwordx2 v[8:9], v[10:11], off
	s_mov_b64 s[2:3], 0
	s_waitcnt vmcnt(1)
	v_subrev_u32_e32 v12, s34, v12
	v_ashrrev_i32_e32 v13, 31, v12
	v_lshlrev_b64 v[12:13], 2, v[12:13]
	v_lshl_add_u64 v[20:21], s[8:9], 0, v[12:13]
	v_lshl_add_u64 v[22:23], s[14:15], 0, v[12:13]
	global_load_dword v1, v[20:21], off offset:4
	global_load_dword v14, v[22:23], off
	v_lshl_add_u64 v[12:13], s[16:17], 0, v[12:13]
.LBB37_41:                              ;   Parent Loop BB37_40 Depth=1
                                        ; =>  This Inner Loop Header: Depth=2
	global_load_dword v15, v[12:13], off sc1
	s_waitcnt vmcnt(0)
	v_cmp_ne_u32_e32 vcc, 0, v15
	s_or_b64 s[2:3], vcc, s[2:3]
	s_andn2_b64 exec, exec, s[2:3]
	s_cbranch_execnz .LBB37_41
; %bb.42:                               ;   in Loop: Header=BB37_40 Depth=1
	s_or_b64 exec, exec, s[2:3]
	v_subrev_u32_e32 v1, s34, v1
	v_add_u32_e32 v12, -1, v1
	v_cmp_eq_u32_e32 vcc, -1, v14
	buffer_inv sc1
	s_mov_b64 s[26:27], -1
	v_cndmask_b32_e32 v12, v14, v12, vcc
	v_ashrrev_i32_e32 v13, 31, v12
	v_lshl_add_u64 v[14:15], v[12:13], 3, s[12:13]
	global_load_dwordx2 v[14:15], v[14:15], off
	s_waitcnt vmcnt(0)
	v_cmp_neq_f32_e32 vcc, 0, v14
	v_cmp_neq_f32_e64 s[2:3], 0, v15
	s_or_b64 s[28:29], vcc, s[2:3]
	s_and_saveexec_b64 s[2:3], s[28:29]
	s_cbranch_execz .LBB37_39
; %bb.43:                               ;   in Loop: Header=BB37_40 Depth=1
	v_mul_f32_e32 v13, v15, v15
	v_fmac_f32_e32 v13, v14, v14
	v_div_scale_f32 v20, s[26:27], v13, v13, 1.0
	v_rcp_f32_e32 v21, v20
	v_div_scale_f32 v22, vcc, 1.0, v13, 1.0
	v_fma_f32 v23, -v20, v21, 1.0
	v_fmac_f32_e32 v21, v23, v21
	v_mul_f32_e32 v23, v22, v21
	v_fma_f32 v24, -v20, v23, v22
	v_fmac_f32_e32 v23, v24, v21
	v_fma_f32 v20, -v20, v23, v22
	v_div_fmas_f32 v20, v20, v21, v23
	v_xor_b32_e32 v23, 0x80000000, v8
	v_mov_b32_e32 v22, v9
	v_mov_b32_e32 v24, v15
	v_pk_mul_f32 v[22:23], v[22:23], v[24:25] op_sel_hi:[1,0]
	v_div_fixup_f32 v20, v20, v13, 1.0
	v_pk_fma_f32 v[8:9], v[8:9], v[14:15], v[22:23] op_sel_hi:[1,0,1]
	s_nop 0
	v_pk_mul_f32 v[8:9], v[8:9], v[20:21] op_sel_hi:[1,0]
	global_store_dwordx2 v[10:11], v[8:9], off
	v_add_u32_e32 v10, v19, v12
	v_cmp_lt_i32_e32 vcc, v10, v1
	s_and_saveexec_b64 s[26:27], vcc
	s_cbranch_execz .LBB37_38
; %bb.44:                               ;   in Loop: Header=BB37_40 Depth=1
	v_pk_add_f32 v[12:13], v[8:9], 0 neg_lo:[1,1] neg_hi:[1,1]
	s_mov_b64 s[28:29], 0
	v_pk_mov_b32 v[12:13], v[8:9], v[12:13] op_sel:[1,0]
	s_branch .LBB37_46
.LBB37_45:                              ;   in Loop: Header=BB37_46 Depth=2
	s_or_b64 exec, exec, s[30:31]
	v_add_u32_e32 v10, 64, v10
	v_cmp_ge_i32_e32 vcc, v10, v1
	s_or_b64 s[28:29], vcc, s[28:29]
	s_andn2_b64 exec, exec, s[28:29]
	s_cbranch_execz .LBB37_38
.LBB37_46:                              ;   Parent Loop BB37_40 Depth=1
                                        ; =>  This Loop Header: Depth=2
                                        ;       Child Loop BB37_55 Depth 3
	v_ashrrev_i32_e32 v11, 31, v10
	v_lshl_add_u64 v[14:15], v[10:11], 2, s[10:11]
	global_load_dword v14, v[14:15], off
	v_mov_b32_e32 v15, 0x400
	s_mov_b64 s[36:37], 0
                                        ; implicit-def: $sgpr30_sgpr31
                                        ; implicit-def: $sgpr38_sgpr39
                                        ; implicit-def: $sgpr40_sgpr41
	s_waitcnt vmcnt(0)
	v_mul_lo_u32 v21, v14, s62
	s_branch .LBB37_55
.LBB37_47:                              ;   in Loop: Header=BB37_55 Depth=3
	s_or_b64 exec, exec, s[60:61]
	s_orn2_b64 s[56:57], s[56:57], exec
	s_orn2_b64 s[58:59], s[58:59], exec
.LBB37_48:                              ;   in Loop: Header=BB37_55 Depth=3
	s_or_b64 exec, exec, s[54:55]
	s_and_b64 s[56:57], s[56:57], exec
	s_orn2_b64 s[54:55], s[58:59], exec
.LBB37_49:                              ;   in Loop: Header=BB37_55 Depth=3
	s_or_b64 exec, exec, s[52:53]
	s_orn2_b64 s[56:57], s[56:57], exec
	s_orn2_b64 s[52:53], s[54:55], exec
.LBB37_50:                              ;   in Loop: Header=BB37_55 Depth=3
	s_or_b64 exec, exec, s[50:51]
	s_and_b64 s[54:55], s[56:57], exec
	s_orn2_b64 s[50:51], s[52:53], exec
.LBB37_51:                              ;   in Loop: Header=BB37_55 Depth=3
	s_or_b64 exec, exec, s[48:49]
	s_orn2_b64 s[48:49], s[54:55], exec
	s_orn2_b64 s[50:51], s[50:51], exec
.LBB37_52:                              ;   in Loop: Header=BB37_55 Depth=3
	s_or_b64 exec, exec, s[46:47]
	s_and_b64 s[48:49], s[48:49], exec
	s_orn2_b64 s[46:47], s[50:51], exec
.LBB37_53:                              ;   in Loop: Header=BB37_55 Depth=3
	s_or_b64 exec, exec, s[44:45]
	s_andn2_b64 s[40:41], s[40:41], exec
	s_and_b64 s[44:45], s[48:49], exec
	s_or_b64 s[40:41], s[40:41], s[44:45]
	s_andn2_b64 s[38:39], s[38:39], exec
	s_and_b64 s[44:45], s[46:47], exec
	s_or_b64 s[38:39], s[38:39], s[44:45]
.LBB37_54:                              ;   in Loop: Header=BB37_55 Depth=3
	s_or_b64 exec, exec, s[42:43]
	s_and_b64 s[42:43], exec, s[38:39]
	s_or_b64 s[36:37], s[42:43], s[36:37]
	s_andn2_b64 s[30:31], s[30:31], exec
	s_and_b64 s[42:43], s[40:41], exec
	s_or_b64 s[30:31], s[30:31], s[42:43]
	s_andn2_b64 exec, exec, s[36:37]
	s_cbranch_execz .LBB37_64
.LBB37_55:                              ;   Parent Loop BB37_40 Depth=1
                                        ;     Parent Loop BB37_46 Depth=2
                                        ; =>    This Inner Loop Header: Depth=3
	v_and_b32_e32 v20, 0x3ff, v21
	v_lshl_add_u32 v22, v20, 2, v18
	ds_read_b32 v22, v22
	s_or_b64 s[40:41], s[40:41], exec
	s_or_b64 s[38:39], s[38:39], exec
	s_waitcnt lgkmcnt(0)
	v_cmp_ne_u32_e32 vcc, -1, v22
	s_and_saveexec_b64 s[42:43], vcc
	s_cbranch_execz .LBB37_54
; %bb.56:                               ;   in Loop: Header=BB37_55 Depth=3
	v_cmp_ne_u32_e32 vcc, v22, v14
	s_mov_b64 s[46:47], -1
	s_mov_b64 s[48:49], 0
	s_and_saveexec_b64 s[44:45], vcc
	s_cbranch_execz .LBB37_53
; %bb.57:                               ;   in Loop: Header=BB37_55 Depth=3
	v_add_u32_e32 v20, 1, v21
	v_and_b32_e32 v20, 0x3ff, v20
	v_lshl_add_u32 v22, v20, 2, v18
	ds_read_b32 v22, v22
	s_mov_b64 s[50:51], -1
	s_mov_b64 s[48:49], -1
	s_waitcnt lgkmcnt(0)
	v_cmp_ne_u32_e32 vcc, -1, v22
	s_and_saveexec_b64 s[46:47], vcc
	s_cbranch_execz .LBB37_52
; %bb.58:                               ;   in Loop: Header=BB37_55 Depth=3
	v_cmp_ne_u32_e32 vcc, v22, v14
	s_mov_b64 s[54:55], 0
	s_and_saveexec_b64 s[48:49], vcc
	s_cbranch_execz .LBB37_51
; %bb.59:                               ;   in Loop: Header=BB37_55 Depth=3
	v_add_u32_e32 v20, 2, v21
	v_and_b32_e32 v20, 0x3ff, v20
	v_lshl_add_u32 v22, v20, 2, v18
	ds_read_b32 v22, v22
	s_mov_b64 s[52:53], -1
	s_mov_b64 s[56:57], -1
	s_waitcnt lgkmcnt(0)
	v_cmp_ne_u32_e32 vcc, -1, v22
	s_and_saveexec_b64 s[50:51], vcc
	s_cbranch_execz .LBB37_50
; %bb.60:                               ;   in Loop: Header=BB37_55 Depth=3
	v_cmp_ne_u32_e32 vcc, v22, v14
	s_mov_b64 s[54:55], -1
	s_mov_b64 s[56:57], 0
	s_and_saveexec_b64 s[52:53], vcc
	s_cbranch_execz .LBB37_49
; %bb.61:                               ;   in Loop: Header=BB37_55 Depth=3
	v_add_u32_e32 v20, 3, v21
	v_and_b32_e32 v20, 0x3ff, v20
	v_lshl_add_u32 v21, v20, 2, v18
	ds_read_b32 v22, v21
	s_mov_b64 s[58:59], -1
	s_mov_b64 s[56:57], -1
                                        ; implicit-def: $vgpr21
	s_waitcnt lgkmcnt(0)
	v_cmp_ne_u32_e32 vcc, -1, v22
	s_and_saveexec_b64 s[54:55], vcc
	s_cbranch_execz .LBB37_48
; %bb.62:                               ;   in Loop: Header=BB37_55 Depth=3
	v_cmp_ne_u32_e32 vcc, v22, v14
	s_mov_b64 s[56:57], 0
                                        ; implicit-def: $vgpr21
	s_and_saveexec_b64 s[60:61], vcc
	s_cbranch_execz .LBB37_47
; %bb.63:                               ;   in Loop: Header=BB37_55 Depth=3
	v_add_u32_e32 v15, -4, v15
	v_cmp_eq_u32_e32 vcc, 0, v15
	s_mov_b64 s[56:57], exec
	v_add_u32_e32 v21, 1, v20
	s_orn2_b64 s[58:59], vcc, exec
	s_branch .LBB37_47
.LBB37_64:                              ;   in Loop: Header=BB37_46 Depth=2
	s_or_b64 exec, exec, s[36:37]
	s_xor_b64 s[30:31], s[30:31], -1
	s_and_saveexec_b64 s[36:37], s[30:31]
	s_xor_b64 s[30:31], exec, s[36:37]
	s_cbranch_execz .LBB37_45
; %bb.65:                               ;   in Loop: Header=BB37_46 Depth=2
	v_lshl_add_u32 v14, v20, 2, v7
	ds_read_b32 v14, v14
	v_lshl_add_u64 v[20:21], v[10:11], 3, s[12:13]
	s_waitcnt lgkmcnt(0)
	v_ashrrev_i32_e32 v15, 31, v14
	v_lshl_add_u64 v[14:15], v[14:15], 3, s[12:13]
	global_load_dwordx2 v[22:23], v[20:21], off
	global_load_dwordx2 v[24:25], v[14:15], off
	s_waitcnt vmcnt(0)
	v_pk_fma_f32 v[20:21], v[8:9], v[22:23], v[24:25] op_sel_hi:[1,0,1] neg_lo:[1,0,0] neg_hi:[1,0,0]
	s_nop 0
	v_pk_fma_f32 v[20:21], v[12:13], v[22:23], v[20:21] op_sel:[0,1,0]
	global_store_dwordx2 v[14:15], v[20:21], off
	s_branch .LBB37_45
.LBB37_66:
	s_or_b64 exec, exec, s[4:5]
	v_cmp_lt_i32_e32 vcc, -1, v6
	s_and_saveexec_b64 s[8:9], vcc
	s_cbranch_execz .LBB37_88
; %bb.67:
	v_mov_b32_e32 v7, 0
	v_lshl_add_u64 v[8:9], v[6:7], 3, s[12:13]
	global_load_dwordx2 v[0:1], v[8:9], off
	s_waitcnt vmcnt(0)
	v_cmp_gt_f32_e32 vcc, 0, v0
	s_nop 1
	v_cndmask_b32_e64 v6, v0, -v0, vcc
	v_cmp_gt_f32_e32 vcc, 0, v1
	s_nop 1
	v_cndmask_b32_e64 v10, v1, -v1, vcc
	v_cmp_ngt_f32_e32 vcc, v6, v10
	s_and_saveexec_b64 s[2:3], vcc
	s_xor_b64 s[4:5], exec, s[2:3]
	s_cbranch_execz .LBB37_71
; %bb.68:
	v_cmp_neq_f32_e32 vcc, 0, v1
	s_and_saveexec_b64 s[10:11], vcc
	s_cbranch_execz .LBB37_70
; %bb.69:
	v_div_scale_f32 v7, s[2:3], v10, v10, v6
	v_rcp_f32_e32 v11, v7
	v_div_scale_f32 v12, vcc, v6, v10, v6
	s_mov_b32 s2, 0xf800000
	v_fma_f32 v13, -v7, v11, 1.0
	v_fmac_f32_e32 v11, v13, v11
	v_mul_f32_e32 v13, v12, v11
	v_fma_f32 v14, -v7, v13, v12
	v_fmac_f32_e32 v13, v14, v11
	v_fma_f32 v7, -v7, v13, v12
	v_div_fmas_f32 v7, v7, v11, v13
	v_div_fixup_f32 v6, v7, v10, v6
	v_fma_f32 v6, v6, v6, 1.0
	v_mul_f32_e32 v7, 0x4f800000, v6
	v_cmp_gt_f32_e32 vcc, s2, v6
	s_nop 1
	v_cndmask_b32_e32 v6, v6, v7, vcc
	v_sqrt_f32_e32 v7, v6
	s_nop 0
	v_add_u32_e32 v11, -1, v7
	v_fma_f32 v12, -v11, v7, v6
	v_cmp_ge_f32_e64 s[2:3], 0, v12
	v_add_u32_e32 v12, 1, v7
	s_nop 0
	v_cndmask_b32_e64 v11, v7, v11, s[2:3]
	v_fma_f32 v7, -v12, v7, v6
	v_cmp_lt_f32_e64 s[2:3], 0, v7
	s_nop 1
	v_cndmask_b32_e64 v7, v11, v12, s[2:3]
	v_mul_f32_e32 v11, 0x37800000, v7
	v_cndmask_b32_e32 v7, v7, v11, vcc
	v_mov_b32_e32 v11, 0x260
	v_cmp_class_f32_e32 vcc, v6, v11
	s_nop 1
	v_cndmask_b32_e32 v6, v7, v6, vcc
	v_mul_f32_e32 v7, v10, v6
.LBB37_70:
	s_or_b64 exec, exec, s[10:11]
                                        ; implicit-def: $vgpr6
                                        ; implicit-def: $vgpr10
.LBB37_71:
	s_andn2_saveexec_b64 s[4:5], s[4:5]
	s_cbranch_execz .LBB37_73
; %bb.72:
	v_div_scale_f32 v7, s[2:3], v6, v6, v10
	v_rcp_f32_e32 v11, v7
	v_div_scale_f32 v12, vcc, v10, v6, v10
	s_mov_b32 s2, 0xf800000
	v_fma_f32 v13, -v7, v11, 1.0
	v_fmac_f32_e32 v11, v13, v11
	v_mul_f32_e32 v13, v12, v11
	v_fma_f32 v14, -v7, v13, v12
	v_fmac_f32_e32 v13, v14, v11
	v_fma_f32 v7, -v7, v13, v12
	v_div_fmas_f32 v7, v7, v11, v13
	v_div_fixup_f32 v7, v7, v6, v10
	v_fma_f32 v7, v7, v7, 1.0
	v_mul_f32_e32 v10, 0x4f800000, v7
	v_cmp_gt_f32_e32 vcc, s2, v7
	s_nop 1
	v_cndmask_b32_e32 v7, v7, v10, vcc
	v_sqrt_f32_e32 v10, v7
	s_nop 0
	v_add_u32_e32 v11, -1, v10
	v_fma_f32 v12, -v11, v10, v7
	v_cmp_ge_f32_e64 s[2:3], 0, v12
	v_add_u32_e32 v12, 1, v10
	s_nop 0
	v_cndmask_b32_e64 v11, v10, v11, s[2:3]
	v_fma_f32 v10, -v12, v10, v7
	v_cmp_lt_f32_e64 s[2:3], 0, v10
	s_nop 1
	v_cndmask_b32_e64 v10, v11, v12, s[2:3]
	v_mul_f32_e32 v11, 0x37800000, v10
	v_cndmask_b32_e32 v10, v10, v11, vcc
	v_mov_b32_e32 v11, 0x260
	v_cmp_class_f32_e32 vcc, v7, v11
	s_nop 1
	v_cndmask_b32_e32 v7, v10, v7, vcc
	v_mul_f32_e32 v7, v6, v7
.LBB37_73:
	s_or_b64 exec, exec, s[4:5]
	v_cvt_f64_f32_e32 v[6:7], v7
	v_cmp_eq_u32_e64 s[4:5], 0, v16
	s_and_b64 vcc, exec, s[6:7]
	s_mov_b64 s[2:3], -1
	s_cbranch_vccnz .LBB37_77
; %bb.74:
	s_cmp_eq_u64 s[24:25], 8
	v_cvt_f64_f32_e32 v[10:11], v17
	s_cselect_b64 vcc, -1, 0
	v_cndmask_b32_e32 v5, v11, v5, vcc
	v_cndmask_b32_e32 v4, v10, v4, vcc
	v_cmp_ge_f64_e32 vcc, v[4:5], v[6:7]
	s_and_b64 s[6:7], s[4:5], vcc
	s_and_saveexec_b64 s[2:3], s[6:7]
	s_cbranch_execz .LBB37_76
; %bb.75:
	v_mov_b32_e32 v4, s33
	v_mov_b32_e32 v5, s35
	global_store_dwordx2 v[8:9], v[4:5], off
	buffer_wbl2 sc1
	s_waitcnt vmcnt(0)
	buffer_inv sc1
.LBB37_76:
	s_or_b64 exec, exec, s[2:3]
	s_mov_b64 s[2:3], 0
.LBB37_77:
	s_andn2_b64 vcc, exec, s[2:3]
	s_cbranch_vccnz .LBB37_88
; %bb.78:
	s_load_dwordx2 s[0:1], s[0:1], 0x48
	v_add_u32_e32 v4, s34, v2
	s_waitcnt lgkmcnt(0)
	v_cmp_ge_f64_e32 vcc, s[0:1], v[6:7]
	s_and_b64 s[2:3], s[4:5], vcc
	s_and_saveexec_b64 s[0:1], s[2:3]
	s_cbranch_execz .LBB37_83
; %bb.79:
	s_mov_b64 s[2:3], exec
	s_brev_b32 s6, -2
.LBB37_80:                              ; =>This Inner Loop Header: Depth=1
	s_ff1_i32_b64 s7, s[2:3]
	v_readlane_b32 s12, v4, s7
	s_lshl_b64 s[10:11], 1, s7
	s_min_i32 s6, s6, s12
	s_andn2_b64 s[2:3], s[2:3], s[10:11]
	s_cmp_lg_u64 s[2:3], 0
	s_cbranch_scc1 .LBB37_80
; %bb.81:
	v_mbcnt_lo_u32_b32 v5, exec_lo, 0
	v_mbcnt_hi_u32_b32 v5, exec_hi, v5
	v_cmp_eq_u32_e32 vcc, 0, v5
	s_and_saveexec_b64 s[2:3], vcc
	s_xor_b64 s[2:3], exec, s[2:3]
	s_cbranch_execz .LBB37_83
; %bb.82:
	v_mov_b32_e32 v5, 0
	v_mov_b32_e32 v6, s6
	global_atomic_smin v5, v6, s[22:23]
.LBB37_83:
	s_or_b64 exec, exec, s[0:1]
	v_cmp_eq_f32_e32 vcc, 0, v0
	v_cmp_eq_f32_e64 s[0:1], 0, v1
	s_and_b64 s[0:1], vcc, s[0:1]
	s_and_b64 s[0:1], s[4:5], s[0:1]
	s_and_b64 exec, exec, s[0:1]
	s_cbranch_execz .LBB37_88
; %bb.84:
	s_mov_b64 s[0:1], exec
	s_brev_b32 s2, -2
.LBB37_85:                              ; =>This Inner Loop Header: Depth=1
	s_ff1_i32_b64 s3, s[0:1]
	v_readlane_b32 s6, v4, s3
	s_lshl_b64 s[4:5], 1, s3
	s_min_i32 s2, s2, s6
	s_andn2_b64 s[0:1], s[0:1], s[4:5]
	s_cmp_lg_u64 s[0:1], 0
	s_cbranch_scc1 .LBB37_85
; %bb.86:
	v_mbcnt_lo_u32_b32 v0, exec_lo, 0
	v_mbcnt_hi_u32_b32 v0, exec_hi, v0
	v_cmp_eq_u32_e32 vcc, 0, v0
	s_and_saveexec_b64 s[0:1], vcc
	s_xor_b64 s[0:1], exec, s[0:1]
	s_cbranch_execz .LBB37_88
; %bb.87:
	v_mov_b32_e32 v0, 0
	v_mov_b32_e32 v1, s2
	global_atomic_smin v0, v1, s[20:21]
.LBB37_88:
	s_or_b64 exec, exec, s[8:9]
	v_cmp_eq_u32_e32 vcc, 0, v16
	buffer_wbl2 sc1
	s_waitcnt vmcnt(0)
	buffer_inv sc1
	s_and_b64 exec, exec, vcc
	s_cbranch_execz .LBB37_90
; %bb.89:
	v_lshl_add_u64 v[0:1], v[2:3], 2, s[16:17]
	v_mov_b32_e32 v2, 1
	buffer_wbl2 sc1
	global_store_dword v[0:1], v2, off sc1
.LBB37_90:
	s_endpgm
	.section	.rodata,"a",@progbits
	.p2align	6, 0x0
	.amdhsa_kernel _ZN9rocsparseL12csrilu0_hashILj256ELj64ELj16E21rocsparse_complex_numIfEEEviPKiS4_PT2_S4_PiS4_S7_S7_d21rocsparse_index_base_imNS_24const_host_device_scalarIfEENS9_IdEENS9_IS5_EEb
		.amdhsa_group_segment_fixed_size 32768
		.amdhsa_private_segment_fixed_size 0
		.amdhsa_kernarg_size 124
		.amdhsa_user_sgpr_count 2
		.amdhsa_user_sgpr_dispatch_ptr 0
		.amdhsa_user_sgpr_queue_ptr 0
		.amdhsa_user_sgpr_kernarg_segment_ptr 1
		.amdhsa_user_sgpr_dispatch_id 0
		.amdhsa_user_sgpr_kernarg_preload_length 0
		.amdhsa_user_sgpr_kernarg_preload_offset 0
		.amdhsa_user_sgpr_private_segment_size 0
		.amdhsa_uses_dynamic_stack 0
		.amdhsa_enable_private_segment 0
		.amdhsa_system_sgpr_workgroup_id_x 1
		.amdhsa_system_sgpr_workgroup_id_y 0
		.amdhsa_system_sgpr_workgroup_id_z 0
		.amdhsa_system_sgpr_workgroup_info 0
		.amdhsa_system_vgpr_workitem_id 0
		.amdhsa_next_free_vgpr 81
		.amdhsa_next_free_sgpr 96
		.amdhsa_accum_offset 28
		.amdhsa_reserve_vcc 1
		.amdhsa_float_round_mode_32 0
		.amdhsa_float_round_mode_16_64 0
		.amdhsa_float_denorm_mode_32 3
		.amdhsa_float_denorm_mode_16_64 3
		.amdhsa_dx10_clamp 1
		.amdhsa_ieee_mode 1
		.amdhsa_fp16_overflow 0
		.amdhsa_tg_split 0
		.amdhsa_exception_fp_ieee_invalid_op 0
		.amdhsa_exception_fp_denorm_src 0
		.amdhsa_exception_fp_ieee_div_zero 0
		.amdhsa_exception_fp_ieee_overflow 0
		.amdhsa_exception_fp_ieee_underflow 0
		.amdhsa_exception_fp_ieee_inexact 0
		.amdhsa_exception_int_div_zero 0
	.end_amdhsa_kernel
	.section	.text._ZN9rocsparseL12csrilu0_hashILj256ELj64ELj16E21rocsparse_complex_numIfEEEviPKiS4_PT2_S4_PiS4_S7_S7_d21rocsparse_index_base_imNS_24const_host_device_scalarIfEENS9_IdEENS9_IS5_EEb,"axG",@progbits,_ZN9rocsparseL12csrilu0_hashILj256ELj64ELj16E21rocsparse_complex_numIfEEEviPKiS4_PT2_S4_PiS4_S7_S7_d21rocsparse_index_base_imNS_24const_host_device_scalarIfEENS9_IdEENS9_IS5_EEb,comdat
.Lfunc_end37:
	.size	_ZN9rocsparseL12csrilu0_hashILj256ELj64ELj16E21rocsparse_complex_numIfEEEviPKiS4_PT2_S4_PiS4_S7_S7_d21rocsparse_index_base_imNS_24const_host_device_scalarIfEENS9_IdEENS9_IS5_EEb, .Lfunc_end37-_ZN9rocsparseL12csrilu0_hashILj256ELj64ELj16E21rocsparse_complex_numIfEEEviPKiS4_PT2_S4_PiS4_S7_S7_d21rocsparse_index_base_imNS_24const_host_device_scalarIfEENS9_IdEENS9_IS5_EEb
                                        ; -- End function
	.set _ZN9rocsparseL12csrilu0_hashILj256ELj64ELj16E21rocsparse_complex_numIfEEEviPKiS4_PT2_S4_PiS4_S7_S7_d21rocsparse_index_base_imNS_24const_host_device_scalarIfEENS9_IdEENS9_IS5_EEb.num_vgpr, 26
	.set _ZN9rocsparseL12csrilu0_hashILj256ELj64ELj16E21rocsparse_complex_numIfEEEviPKiS4_PT2_S4_PiS4_S7_S7_d21rocsparse_index_base_imNS_24const_host_device_scalarIfEENS9_IdEENS9_IS5_EEb.num_agpr, 0
	.set _ZN9rocsparseL12csrilu0_hashILj256ELj64ELj16E21rocsparse_complex_numIfEEEviPKiS4_PT2_S4_PiS4_S7_S7_d21rocsparse_index_base_imNS_24const_host_device_scalarIfEENS9_IdEENS9_IS5_EEb.numbered_sgpr, 63
	.set _ZN9rocsparseL12csrilu0_hashILj256ELj64ELj16E21rocsparse_complex_numIfEEEviPKiS4_PT2_S4_PiS4_S7_S7_d21rocsparse_index_base_imNS_24const_host_device_scalarIfEENS9_IdEENS9_IS5_EEb.num_named_barrier, 0
	.set _ZN9rocsparseL12csrilu0_hashILj256ELj64ELj16E21rocsparse_complex_numIfEEEviPKiS4_PT2_S4_PiS4_S7_S7_d21rocsparse_index_base_imNS_24const_host_device_scalarIfEENS9_IdEENS9_IS5_EEb.private_seg_size, 0
	.set _ZN9rocsparseL12csrilu0_hashILj256ELj64ELj16E21rocsparse_complex_numIfEEEviPKiS4_PT2_S4_PiS4_S7_S7_d21rocsparse_index_base_imNS_24const_host_device_scalarIfEENS9_IdEENS9_IS5_EEb.uses_vcc, 1
	.set _ZN9rocsparseL12csrilu0_hashILj256ELj64ELj16E21rocsparse_complex_numIfEEEviPKiS4_PT2_S4_PiS4_S7_S7_d21rocsparse_index_base_imNS_24const_host_device_scalarIfEENS9_IdEENS9_IS5_EEb.uses_flat_scratch, 0
	.set _ZN9rocsparseL12csrilu0_hashILj256ELj64ELj16E21rocsparse_complex_numIfEEEviPKiS4_PT2_S4_PiS4_S7_S7_d21rocsparse_index_base_imNS_24const_host_device_scalarIfEENS9_IdEENS9_IS5_EEb.has_dyn_sized_stack, 0
	.set _ZN9rocsparseL12csrilu0_hashILj256ELj64ELj16E21rocsparse_complex_numIfEEEviPKiS4_PT2_S4_PiS4_S7_S7_d21rocsparse_index_base_imNS_24const_host_device_scalarIfEENS9_IdEENS9_IS5_EEb.has_recursion, 0
	.set _ZN9rocsparseL12csrilu0_hashILj256ELj64ELj16E21rocsparse_complex_numIfEEEviPKiS4_PT2_S4_PiS4_S7_S7_d21rocsparse_index_base_imNS_24const_host_device_scalarIfEENS9_IdEENS9_IS5_EEb.has_indirect_call, 0
	.section	.AMDGPU.csdata,"",@progbits
; Kernel info:
; codeLenInByte = 3144
; TotalNumSgprs: 69
; NumVgprs: 26
; NumAgprs: 0
; TotalNumVgprs: 26
; ScratchSize: 0
; MemoryBound: 0
; FloatMode: 240
; IeeeMode: 1
; LDSByteSize: 32768 bytes/workgroup (compile time only)
; SGPRBlocks: 12
; VGPRBlocks: 10
; NumSGPRsForWavesPerEU: 102
; NumVGPRsForWavesPerEU: 81
; AccumOffset: 28
; Occupancy: 5
; WaveLimiterHint : 1
; COMPUTE_PGM_RSRC2:SCRATCH_EN: 0
; COMPUTE_PGM_RSRC2:USER_SGPR: 2
; COMPUTE_PGM_RSRC2:TRAP_HANDLER: 0
; COMPUTE_PGM_RSRC2:TGID_X_EN: 1
; COMPUTE_PGM_RSRC2:TGID_Y_EN: 0
; COMPUTE_PGM_RSRC2:TGID_Z_EN: 0
; COMPUTE_PGM_RSRC2:TIDIG_COMP_CNT: 0
; COMPUTE_PGM_RSRC3_GFX90A:ACCUM_OFFSET: 6
; COMPUTE_PGM_RSRC3_GFX90A:TG_SPLIT: 0
	.section	.text._ZN9rocsparseL17csrilu0_binsearchILj256ELj64ELb0E21rocsparse_complex_numIfEEEviPKiS4_PT2_S4_PiS4_S7_S7_d21rocsparse_index_base_imNS_24const_host_device_scalarIfEENS9_IdEENS9_IS5_EEb,"axG",@progbits,_ZN9rocsparseL17csrilu0_binsearchILj256ELj64ELb0E21rocsparse_complex_numIfEEEviPKiS4_PT2_S4_PiS4_S7_S7_d21rocsparse_index_base_imNS_24const_host_device_scalarIfEENS9_IdEENS9_IS5_EEb,comdat
	.globl	_ZN9rocsparseL17csrilu0_binsearchILj256ELj64ELb0E21rocsparse_complex_numIfEEEviPKiS4_PT2_S4_PiS4_S7_S7_d21rocsparse_index_base_imNS_24const_host_device_scalarIfEENS9_IdEENS9_IS5_EEb ; -- Begin function _ZN9rocsparseL17csrilu0_binsearchILj256ELj64ELb0E21rocsparse_complex_numIfEEEviPKiS4_PT2_S4_PiS4_S7_S7_d21rocsparse_index_base_imNS_24const_host_device_scalarIfEENS9_IdEENS9_IS5_EEb
	.p2align	8
	.type	_ZN9rocsparseL17csrilu0_binsearchILj256ELj64ELb0E21rocsparse_complex_numIfEEEviPKiS4_PT2_S4_PiS4_S7_S7_d21rocsparse_index_base_imNS_24const_host_device_scalarIfEENS9_IdEENS9_IS5_EEb,@function
_ZN9rocsparseL17csrilu0_binsearchILj256ELj64ELb0E21rocsparse_complex_numIfEEEviPKiS4_PT2_S4_PiS4_S7_S7_d21rocsparse_index_base_imNS_24const_host_device_scalarIfEENS9_IdEENS9_IS5_EEb: ; @_ZN9rocsparseL17csrilu0_binsearchILj256ELj64ELb0E21rocsparse_complex_numIfEEEviPKiS4_PT2_S4_PiS4_S7_S7_d21rocsparse_index_base_imNS_24const_host_device_scalarIfEENS9_IdEENS9_IS5_EEb
; %bb.0:
	s_load_dword s3, s[0:1], 0x78
	s_load_dwordx2 s[34:35], s[0:1], 0x50
	s_load_dwordx8 s[24:31], s[0:1], 0x58
	s_waitcnt lgkmcnt(0)
	s_bitcmp1_b32 s3, 0
	s_cselect_b64 s[4:5], -1, 0
	s_cmp_eq_u32 s35, 0
	s_cselect_b64 s[12:13], -1, 0
	s_cmp_lg_u32 s35, 0
	s_cselect_b64 s[8:9], -1, 0
	s_or_b64 s[14:15], s[12:13], s[4:5]
	s_xor_b64 s[6:7], s[14:15], -1
	s_and_b64 s[10:11], s[12:13], exec
	s_cselect_b32 s11, 0, s29
	s_cselect_b32 s10, 0, s28
	s_and_b64 vcc, exec, s[14:15]
	s_cbranch_vccnz .LBB38_2
; %bb.1:
	s_load_dword s3, s[26:27], 0x0
	s_mov_b64 s[10:11], s[28:29]
	s_waitcnt lgkmcnt(0)
	v_mov_b32_e32 v19, s3
	s_andn2_b64 vcc, exec, s[6:7]
	v_mov_b64_e32 v[4:5], s[10:11]
	s_cbranch_vccz .LBB38_3
	s_branch .LBB38_4
.LBB38_2:
	v_mov_b32_e32 v1, s26
	v_cndmask_b32_e64 v19, v1, 0, s[12:13]
	s_andn2_b64 vcc, exec, s[6:7]
	v_mov_b64_e32 v[4:5], s[10:11]
	s_cbranch_vccnz .LBB38_4
.LBB38_3:
	v_mov_b64_e32 v[2:3], s[28:29]
	flat_load_dwordx2 v[4:5], v[2:3]
.LBB38_4:
	v_cndmask_b32_e64 v1, 0, 1, s[8:9]
	s_mov_b32 s33, 0
	v_cmp_ne_u32_e64 s[6:7], 1, v1
	s_andn2_b64 vcc, exec, s[8:9]
	s_mov_b32 s35, 0
	s_cbranch_vccnz .LBB38_10
; %bb.5:
	s_xor_b64 s[8:9], s[4:5], -1
	v_cndmask_b32_e64 v1, 0, 1, s[8:9]
	v_cmp_ne_u32_e64 s[4:5], 1, v1
	s_andn2_b64 vcc, exec, s[8:9]
	s_mov_b32 s33, s30
	s_cbranch_vccnz .LBB38_7
; %bb.6:
	s_load_dword s33, s[30:31], 0x0
.LBB38_7:
	s_and_b64 vcc, exec, s[4:5]
	s_cbranch_vccnz .LBB38_9
; %bb.8:
	s_load_dword s31, s[30:31], 0x4
.LBB38_9:
	s_waitcnt lgkmcnt(0)
	s_mov_b32 s35, s31
.LBB38_10:
	s_load_dword s3, s[0:1], 0x0
	s_lshl_b32 s2, s2, 2
	v_lshrrev_b32_e32 v1, 6, v0
	s_and_b32 s2, s2, 0x3fffffc
	v_or_b32_e32 v1, s2, v1
	s_waitcnt lgkmcnt(0)
	v_cmp_gt_i32_e32 vcc, s3, v1
	s_and_saveexec_b64 s[2:3], vcc
	s_cbranch_execz .LBB38_52
; %bb.11:
	s_load_dwordx16 s[8:23], s[0:1], 0x8
	v_lshlrev_b32_e32 v1, 2, v1
	v_and_b32_e32 v18, 63, v0
	s_waitcnt lgkmcnt(0)
	global_load_dword v2, v1, s[18:19]
	s_waitcnt vmcnt(0)
	v_ashrrev_i32_e32 v3, 31, v2
	v_lshlrev_b64 v[6:7], 2, v[2:3]
	v_lshl_add_u64 v[8:9], s[8:9], 0, v[6:7]
	v_lshl_add_u64 v[10:11], s[14:15], 0, v[6:7]
	global_load_dword v1, v[8:9], off
	global_load_dword v6, v[10:11], off
	s_waitcnt vmcnt(1)
	v_subrev_u32_e32 v0, s34, v1
	s_waitcnt vmcnt(0)
	v_cmp_lt_i32_e32 vcc, v0, v6
	s_and_saveexec_b64 s[4:5], vcc
	s_cbranch_execz .LBB38_28
; %bb.12:
	global_load_dword v1, v[8:9], off offset:4
	v_add_u32_e32 v7, 1, v18
	s_mov_b64 s[18:19], 0
	s_waitcnt vmcnt(0)
	v_xad_u32 v20, s34, -1, v1
	s_branch .LBB38_15
.LBB38_13:                              ;   in Loop: Header=BB38_15 Depth=1
	s_or_b64 exec, exec, s[26:27]
	v_cmp_ge_i32_e32 vcc, v0, v6
	s_orn2_b64 s[26:27], vcc, exec
.LBB38_14:                              ;   in Loop: Header=BB38_15 Depth=1
	s_or_b64 exec, exec, s[2:3]
	s_and_b64 s[2:3], exec, s[26:27]
	s_or_b64 s[18:19], s[2:3], s[18:19]
	s_andn2_b64 exec, exec, s[18:19]
	s_cbranch_execz .LBB38_28
.LBB38_15:                              ; =>This Loop Header: Depth=1
                                        ;     Child Loop BB38_17 Depth 2
                                        ;     Child Loop BB38_22 Depth 2
                                        ;       Child Loop BB38_24 Depth 3
	v_ashrrev_i32_e32 v1, 31, v0
	v_lshl_add_u64 v[8:9], v[0:1], 2, s[10:11]
	global_load_dword v12, v[8:9], off
	v_lshl_add_u64 v[10:11], v[0:1], 3, s[12:13]
	global_load_dwordx2 v[8:9], v[10:11], off
	s_waitcnt vmcnt(1)
	v_subrev_u32_e32 v12, s34, v12
	v_ashrrev_i32_e32 v13, 31, v12
	v_lshlrev_b64 v[12:13], 2, v[12:13]
	v_lshl_add_u64 v[16:17], s[8:9], 0, v[12:13]
	v_lshl_add_u64 v[22:23], s[14:15], 0, v[12:13]
	;; [unrolled: 1-line block ×3, first 2 shown]
	global_load_dword v1, v[16:17], off offset:4
	global_load_dword v14, v[22:23], off
	global_load_dword v15, v[12:13], off sc1
	s_waitcnt vmcnt(0)
	v_cmp_eq_u32_e32 vcc, 0, v15
	s_and_saveexec_b64 s[2:3], vcc
	s_cbranch_execz .LBB38_18
; %bb.16:                               ;   in Loop: Header=BB38_15 Depth=1
	s_mov_b64 s[26:27], 0
.LBB38_17:                              ;   Parent Loop BB38_15 Depth=1
                                        ; =>  This Inner Loop Header: Depth=2
	global_load_dword v15, v[12:13], off sc1
	s_waitcnt vmcnt(0)
	v_cmp_ne_u32_e32 vcc, 0, v15
	s_or_b64 s[26:27], vcc, s[26:27]
	s_andn2_b64 exec, exec, s[26:27]
	s_cbranch_execnz .LBB38_17
.LBB38_18:                              ;   in Loop: Header=BB38_15 Depth=1
	s_or_b64 exec, exec, s[2:3]
	v_subrev_u32_e32 v1, s34, v1
	v_add_u32_e32 v12, -1, v1
	v_cmp_eq_u32_e32 vcc, -1, v14
	buffer_inv sc1
	s_mov_b64 s[26:27], -1
	v_cndmask_b32_e32 v12, v14, v12, vcc
	v_ashrrev_i32_e32 v13, 31, v12
	v_lshl_add_u64 v[14:15], v[12:13], 3, s[12:13]
	global_load_dwordx2 v[14:15], v[14:15], off
	s_waitcnt vmcnt(0)
	v_cmp_neq_f32_e32 vcc, 0, v14
	v_cmp_neq_f32_e64 s[2:3], 0, v15
	s_or_b64 s[2:3], vcc, s[2:3]
	s_and_saveexec_b64 s[28:29], s[2:3]
	s_xor_b64 s[2:3], exec, s[28:29]
	s_cbranch_execz .LBB38_14
; %bb.19:                               ;   in Loop: Header=BB38_15 Depth=1
	v_mul_f32_e32 v13, v15, v15
	v_fmac_f32_e32 v13, v14, v14
	v_div_scale_f32 v16, s[26:27], v13, v13, 1.0
	v_rcp_f32_e32 v17, v16
	v_div_scale_f32 v21, vcc, 1.0, v13, 1.0
	v_mov_b32_e32 v24, v15
	v_fma_f32 v22, -v16, v17, 1.0
	v_fmac_f32_e32 v17, v22, v17
	v_mul_f32_e32 v22, v21, v17
	v_fma_f32 v23, -v16, v22, v21
	v_fmac_f32_e32 v22, v23, v17
	v_fma_f32 v16, -v16, v22, v21
	v_div_fmas_f32 v16, v16, v17, v22
	v_xor_b32_e32 v23, 0x80000000, v8
	v_mov_b32_e32 v22, v9
	v_pk_mul_f32 v[22:23], v[22:23], v[24:25] op_sel_hi:[1,0]
	v_div_fixup_f32 v16, v16, v13, 1.0
	v_pk_fma_f32 v[8:9], v[8:9], v[14:15], v[22:23] op_sel_hi:[1,0,1]
	v_add_u32_e32 v0, 1, v0
	v_pk_mul_f32 v[8:9], v[8:9], v[16:17] op_sel_hi:[1,0]
	global_store_dwordx2 v[10:11], v[8:9], off
	v_add_u32_e32 v10, v7, v12
	v_cmp_lt_i32_e32 vcc, v10, v1
	s_and_saveexec_b64 s[26:27], vcc
	s_cbranch_execz .LBB38_13
; %bb.20:                               ;   in Loop: Header=BB38_15 Depth=1
	v_pk_add_f32 v[12:13], v[8:9], 0 neg_lo:[1,1] neg_hi:[1,1]
	s_mov_b64 s[28:29], 0
	v_pk_mov_b32 v[12:13], v[8:9], v[12:13] op_sel:[1,0]
	v_mov_b32_e32 v14, v0
	s_branch .LBB38_22
.LBB38_21:                              ;   in Loop: Header=BB38_22 Depth=2
	s_or_b64 exec, exec, s[30:31]
	v_add_u32_e32 v10, 64, v10
	v_cmp_ge_i32_e32 vcc, v10, v1
	s_or_b64 s[28:29], vcc, s[28:29]
	s_andn2_b64 exec, exec, s[28:29]
	s_cbranch_execz .LBB38_13
.LBB38_22:                              ;   Parent Loop BB38_15 Depth=1
                                        ; =>  This Loop Header: Depth=2
                                        ;       Child Loop BB38_24 Depth 3
	v_add_u32_e32 v15, v14, v20
	v_ashrrev_i32_e32 v11, 31, v10
	v_ashrrev_i32_e32 v16, 1, v15
	v_lshl_add_u64 v[22:23], v[10:11], 2, s[10:11]
	v_ashrrev_i32_e32 v17, 31, v16
	v_lshl_add_u64 v[24:25], v[16:17], 2, s[10:11]
	global_load_dword v15, v[22:23], off
	global_load_dword v17, v[24:25], off
	v_cmp_lt_i32_e32 vcc, v14, v20
	s_and_saveexec_b64 s[30:31], vcc
	s_cbranch_execz .LBB38_26
; %bb.23:                               ;   in Loop: Header=BB38_22 Depth=2
	s_mov_b64 s[36:37], 0
	v_mov_b32_e32 v21, v20
.LBB38_24:                              ;   Parent Loop BB38_15 Depth=1
                                        ;     Parent Loop BB38_22 Depth=2
                                        ; =>    This Inner Loop Header: Depth=3
	v_add_u32_e32 v22, 1, v16
	s_waitcnt vmcnt(0)
	v_cmp_lt_i32_e32 vcc, v17, v15
	s_nop 1
	v_cndmask_b32_e32 v21, v16, v21, vcc
	v_cndmask_b32_e32 v14, v14, v22, vcc
	v_add_u32_e32 v16, v21, v14
	v_ashrrev_i32_e32 v16, 1, v16
	v_ashrrev_i32_e32 v17, 31, v16
	v_lshl_add_u64 v[22:23], v[16:17], 2, s[10:11]
	global_load_dword v17, v[22:23], off
	v_cmp_ge_i32_e32 vcc, v14, v21
	s_or_b64 s[36:37], vcc, s[36:37]
	s_andn2_b64 exec, exec, s[36:37]
	s_cbranch_execnz .LBB38_24
; %bb.25:                               ;   in Loop: Header=BB38_22 Depth=2
	s_or_b64 exec, exec, s[36:37]
.LBB38_26:                              ;   in Loop: Header=BB38_22 Depth=2
	s_or_b64 exec, exec, s[30:31]
	s_waitcnt vmcnt(0)
	v_cmp_eq_u32_e32 vcc, v17, v15
	s_and_saveexec_b64 s[30:31], vcc
	s_cbranch_execz .LBB38_21
; %bb.27:                               ;   in Loop: Header=BB38_22 Depth=2
	v_lshl_add_u64 v[16:17], v[10:11], 3, s[12:13]
	v_ashrrev_i32_e32 v15, 31, v14
	v_lshl_add_u64 v[22:23], v[14:15], 3, s[12:13]
	global_load_dwordx2 v[24:25], v[16:17], off
	global_load_dwordx2 v[26:27], v[22:23], off
	s_waitcnt vmcnt(0)
	v_pk_fma_f32 v[16:17], v[8:9], v[24:25], v[26:27] op_sel_hi:[1,0,1] neg_lo:[1,0,0] neg_hi:[1,0,0]
	s_nop 0
	v_pk_fma_f32 v[16:17], v[12:13], v[24:25], v[16:17] op_sel:[0,1,0]
	global_store_dwordx2 v[22:23], v[16:17], off
	s_branch .LBB38_21
.LBB38_28:
	s_or_b64 exec, exec, s[4:5]
	v_cmp_lt_i32_e32 vcc, -1, v6
	s_and_saveexec_b64 s[8:9], vcc
	s_cbranch_execz .LBB38_50
; %bb.29:
	v_mov_b32_e32 v7, 0
	v_lshl_add_u64 v[8:9], v[6:7], 3, s[12:13]
	global_load_dwordx2 v[0:1], v[8:9], off
	s_waitcnt vmcnt(0)
	v_cmp_gt_f32_e32 vcc, 0, v0
	s_nop 1
	v_cndmask_b32_e64 v6, v0, -v0, vcc
	v_cmp_gt_f32_e32 vcc, 0, v1
	s_nop 1
	v_cndmask_b32_e64 v10, v1, -v1, vcc
	v_cmp_ngt_f32_e32 vcc, v6, v10
	s_and_saveexec_b64 s[2:3], vcc
	s_xor_b64 s[4:5], exec, s[2:3]
	s_cbranch_execz .LBB38_33
; %bb.30:
	v_cmp_neq_f32_e32 vcc, 0, v1
	s_and_saveexec_b64 s[10:11], vcc
	s_cbranch_execz .LBB38_32
; %bb.31:
	v_div_scale_f32 v7, s[2:3], v10, v10, v6
	v_rcp_f32_e32 v11, v7
	v_div_scale_f32 v12, vcc, v6, v10, v6
	s_mov_b32 s2, 0xf800000
	v_fma_f32 v13, -v7, v11, 1.0
	v_fmac_f32_e32 v11, v13, v11
	v_mul_f32_e32 v13, v12, v11
	v_fma_f32 v14, -v7, v13, v12
	v_fmac_f32_e32 v13, v14, v11
	v_fma_f32 v7, -v7, v13, v12
	v_div_fmas_f32 v7, v7, v11, v13
	v_div_fixup_f32 v6, v7, v10, v6
	v_fma_f32 v6, v6, v6, 1.0
	v_mul_f32_e32 v7, 0x4f800000, v6
	v_cmp_gt_f32_e32 vcc, s2, v6
	s_nop 1
	v_cndmask_b32_e32 v6, v6, v7, vcc
	v_sqrt_f32_e32 v7, v6
	s_nop 0
	v_add_u32_e32 v11, -1, v7
	v_fma_f32 v12, -v11, v7, v6
	v_cmp_ge_f32_e64 s[2:3], 0, v12
	v_add_u32_e32 v12, 1, v7
	s_nop 0
	v_cndmask_b32_e64 v11, v7, v11, s[2:3]
	v_fma_f32 v7, -v12, v7, v6
	v_cmp_lt_f32_e64 s[2:3], 0, v7
	s_nop 1
	v_cndmask_b32_e64 v7, v11, v12, s[2:3]
	v_mul_f32_e32 v11, 0x37800000, v7
	v_cndmask_b32_e32 v7, v7, v11, vcc
	v_mov_b32_e32 v11, 0x260
	v_cmp_class_f32_e32 vcc, v6, v11
	s_nop 1
	v_cndmask_b32_e32 v6, v7, v6, vcc
	v_mul_f32_e32 v7, v10, v6
.LBB38_32:
	s_or_b64 exec, exec, s[10:11]
                                        ; implicit-def: $vgpr6
                                        ; implicit-def: $vgpr10
.LBB38_33:
	s_andn2_saveexec_b64 s[4:5], s[4:5]
	s_cbranch_execz .LBB38_35
; %bb.34:
	v_div_scale_f32 v7, s[2:3], v6, v6, v10
	v_rcp_f32_e32 v11, v7
	v_div_scale_f32 v12, vcc, v10, v6, v10
	s_mov_b32 s2, 0xf800000
	v_fma_f32 v13, -v7, v11, 1.0
	v_fmac_f32_e32 v11, v13, v11
	v_mul_f32_e32 v13, v12, v11
	v_fma_f32 v14, -v7, v13, v12
	v_fmac_f32_e32 v13, v14, v11
	v_fma_f32 v7, -v7, v13, v12
	v_div_fmas_f32 v7, v7, v11, v13
	v_div_fixup_f32 v7, v7, v6, v10
	v_fma_f32 v7, v7, v7, 1.0
	v_mul_f32_e32 v10, 0x4f800000, v7
	v_cmp_gt_f32_e32 vcc, s2, v7
	s_nop 1
	v_cndmask_b32_e32 v7, v7, v10, vcc
	v_sqrt_f32_e32 v10, v7
	s_nop 0
	v_add_u32_e32 v11, -1, v10
	v_fma_f32 v12, -v11, v10, v7
	v_cmp_ge_f32_e64 s[2:3], 0, v12
	v_add_u32_e32 v12, 1, v10
	s_nop 0
	v_cndmask_b32_e64 v11, v10, v11, s[2:3]
	v_fma_f32 v10, -v12, v10, v7
	v_cmp_lt_f32_e64 s[2:3], 0, v10
	s_nop 1
	v_cndmask_b32_e64 v10, v11, v12, s[2:3]
	v_mul_f32_e32 v11, 0x37800000, v10
	v_cndmask_b32_e32 v10, v10, v11, vcc
	v_mov_b32_e32 v11, 0x260
	v_cmp_class_f32_e32 vcc, v7, v11
	s_nop 1
	v_cndmask_b32_e32 v7, v10, v7, vcc
	v_mul_f32_e32 v7, v6, v7
.LBB38_35:
	s_or_b64 exec, exec, s[4:5]
	v_cvt_f64_f32_e32 v[6:7], v7
	v_cmp_eq_u32_e64 s[4:5], 0, v18
	s_and_b64 vcc, exec, s[6:7]
	s_mov_b64 s[2:3], -1
	s_cbranch_vccnz .LBB38_39
; %bb.36:
	s_cmp_eq_u64 s[24:25], 8
	v_cvt_f64_f32_e32 v[10:11], v19
	s_cselect_b64 vcc, -1, 0
	v_cndmask_b32_e32 v5, v11, v5, vcc
	v_cndmask_b32_e32 v4, v10, v4, vcc
	v_cmp_ge_f64_e32 vcc, v[4:5], v[6:7]
	s_and_b64 s[6:7], s[4:5], vcc
	s_and_saveexec_b64 s[2:3], s[6:7]
	s_cbranch_execz .LBB38_38
; %bb.37:
	v_mov_b32_e32 v4, s33
	v_mov_b32_e32 v5, s35
	global_store_dwordx2 v[8:9], v[4:5], off
.LBB38_38:
	s_or_b64 exec, exec, s[2:3]
	s_mov_b64 s[2:3], 0
.LBB38_39:
	s_andn2_b64 vcc, exec, s[2:3]
	s_cbranch_vccnz .LBB38_50
; %bb.40:
	s_load_dwordx2 s[0:1], s[0:1], 0x48
	v_add_u32_e32 v4, s34, v2
	s_waitcnt lgkmcnt(0)
	v_cmp_ge_f64_e32 vcc, s[0:1], v[6:7]
	s_and_b64 s[2:3], s[4:5], vcc
	s_and_saveexec_b64 s[0:1], s[2:3]
	s_cbranch_execz .LBB38_45
; %bb.41:
	s_mov_b64 s[2:3], exec
	s_brev_b32 s6, -2
.LBB38_42:                              ; =>This Inner Loop Header: Depth=1
	s_ff1_i32_b64 s7, s[2:3]
	v_readlane_b32 s12, v4, s7
	s_lshl_b64 s[10:11], 1, s7
	s_min_i32 s6, s6, s12
	s_andn2_b64 s[2:3], s[2:3], s[10:11]
	s_cmp_lg_u64 s[2:3], 0
	s_cbranch_scc1 .LBB38_42
; %bb.43:
	v_mbcnt_lo_u32_b32 v5, exec_lo, 0
	v_mbcnt_hi_u32_b32 v5, exec_hi, v5
	v_cmp_eq_u32_e32 vcc, 0, v5
	s_and_saveexec_b64 s[2:3], vcc
	s_xor_b64 s[2:3], exec, s[2:3]
	s_cbranch_execz .LBB38_45
; %bb.44:
	v_mov_b32_e32 v5, 0
	v_mov_b32_e32 v6, s6
	global_atomic_smin v5, v6, s[22:23]
.LBB38_45:
	s_or_b64 exec, exec, s[0:1]
	v_cmp_eq_f32_e32 vcc, 0, v0
	v_cmp_eq_f32_e64 s[0:1], 0, v1
	s_and_b64 s[0:1], vcc, s[0:1]
	s_and_b64 s[0:1], s[4:5], s[0:1]
	s_and_b64 exec, exec, s[0:1]
	s_cbranch_execz .LBB38_50
; %bb.46:
	s_mov_b64 s[0:1], exec
	s_brev_b32 s2, -2
.LBB38_47:                              ; =>This Inner Loop Header: Depth=1
	s_ff1_i32_b64 s3, s[0:1]
	v_readlane_b32 s6, v4, s3
	s_lshl_b64 s[4:5], 1, s3
	s_min_i32 s2, s2, s6
	s_andn2_b64 s[0:1], s[0:1], s[4:5]
	s_cmp_lg_u64 s[0:1], 0
	s_cbranch_scc1 .LBB38_47
; %bb.48:
	v_mbcnt_lo_u32_b32 v0, exec_lo, 0
	v_mbcnt_hi_u32_b32 v0, exec_hi, v0
	v_cmp_eq_u32_e32 vcc, 0, v0
	s_and_saveexec_b64 s[0:1], vcc
	s_xor_b64 s[0:1], exec, s[0:1]
	s_cbranch_execz .LBB38_50
; %bb.49:
	v_mov_b32_e32 v0, 0
	v_mov_b32_e32 v1, s2
	global_atomic_smin v0, v1, s[20:21]
.LBB38_50:
	s_or_b64 exec, exec, s[8:9]
	v_cmp_eq_u32_e32 vcc, 0, v18
	buffer_wbl2 sc1
	s_waitcnt vmcnt(0)
	buffer_inv sc1
	s_and_b64 exec, exec, vcc
	s_cbranch_execz .LBB38_52
; %bb.51:
	v_lshl_add_u64 v[0:1], v[2:3], 2, s[16:17]
	v_mov_b32_e32 v2, 1
	buffer_wbl2 sc1
	global_store_dword v[0:1], v2, off sc1
.LBB38_52:
	s_endpgm
	.section	.rodata,"a",@progbits
	.p2align	6, 0x0
	.amdhsa_kernel _ZN9rocsparseL17csrilu0_binsearchILj256ELj64ELb0E21rocsparse_complex_numIfEEEviPKiS4_PT2_S4_PiS4_S7_S7_d21rocsparse_index_base_imNS_24const_host_device_scalarIfEENS9_IdEENS9_IS5_EEb
		.amdhsa_group_segment_fixed_size 0
		.amdhsa_private_segment_fixed_size 0
		.amdhsa_kernarg_size 124
		.amdhsa_user_sgpr_count 2
		.amdhsa_user_sgpr_dispatch_ptr 0
		.amdhsa_user_sgpr_queue_ptr 0
		.amdhsa_user_sgpr_kernarg_segment_ptr 1
		.amdhsa_user_sgpr_dispatch_id 0
		.amdhsa_user_sgpr_kernarg_preload_length 0
		.amdhsa_user_sgpr_kernarg_preload_offset 0
		.amdhsa_user_sgpr_private_segment_size 0
		.amdhsa_uses_dynamic_stack 0
		.amdhsa_enable_private_segment 0
		.amdhsa_system_sgpr_workgroup_id_x 1
		.amdhsa_system_sgpr_workgroup_id_y 0
		.amdhsa_system_sgpr_workgroup_id_z 0
		.amdhsa_system_sgpr_workgroup_info 0
		.amdhsa_system_vgpr_workitem_id 0
		.amdhsa_next_free_vgpr 28
		.amdhsa_next_free_sgpr 38
		.amdhsa_accum_offset 28
		.amdhsa_reserve_vcc 1
		.amdhsa_float_round_mode_32 0
		.amdhsa_float_round_mode_16_64 0
		.amdhsa_float_denorm_mode_32 3
		.amdhsa_float_denorm_mode_16_64 3
		.amdhsa_dx10_clamp 1
		.amdhsa_ieee_mode 1
		.amdhsa_fp16_overflow 0
		.amdhsa_tg_split 0
		.amdhsa_exception_fp_ieee_invalid_op 0
		.amdhsa_exception_fp_denorm_src 0
		.amdhsa_exception_fp_ieee_div_zero 0
		.amdhsa_exception_fp_ieee_overflow 0
		.amdhsa_exception_fp_ieee_underflow 0
		.amdhsa_exception_fp_ieee_inexact 0
		.amdhsa_exception_int_div_zero 0
	.end_amdhsa_kernel
	.section	.text._ZN9rocsparseL17csrilu0_binsearchILj256ELj64ELb0E21rocsparse_complex_numIfEEEviPKiS4_PT2_S4_PiS4_S7_S7_d21rocsparse_index_base_imNS_24const_host_device_scalarIfEENS9_IdEENS9_IS5_EEb,"axG",@progbits,_ZN9rocsparseL17csrilu0_binsearchILj256ELj64ELb0E21rocsparse_complex_numIfEEEviPKiS4_PT2_S4_PiS4_S7_S7_d21rocsparse_index_base_imNS_24const_host_device_scalarIfEENS9_IdEENS9_IS5_EEb,comdat
.Lfunc_end38:
	.size	_ZN9rocsparseL17csrilu0_binsearchILj256ELj64ELb0E21rocsparse_complex_numIfEEEviPKiS4_PT2_S4_PiS4_S7_S7_d21rocsparse_index_base_imNS_24const_host_device_scalarIfEENS9_IdEENS9_IS5_EEb, .Lfunc_end38-_ZN9rocsparseL17csrilu0_binsearchILj256ELj64ELb0E21rocsparse_complex_numIfEEEviPKiS4_PT2_S4_PiS4_S7_S7_d21rocsparse_index_base_imNS_24const_host_device_scalarIfEENS9_IdEENS9_IS5_EEb
                                        ; -- End function
	.set _ZN9rocsparseL17csrilu0_binsearchILj256ELj64ELb0E21rocsparse_complex_numIfEEEviPKiS4_PT2_S4_PiS4_S7_S7_d21rocsparse_index_base_imNS_24const_host_device_scalarIfEENS9_IdEENS9_IS5_EEb.num_vgpr, 28
	.set _ZN9rocsparseL17csrilu0_binsearchILj256ELj64ELb0E21rocsparse_complex_numIfEEEviPKiS4_PT2_S4_PiS4_S7_S7_d21rocsparse_index_base_imNS_24const_host_device_scalarIfEENS9_IdEENS9_IS5_EEb.num_agpr, 0
	.set _ZN9rocsparseL17csrilu0_binsearchILj256ELj64ELb0E21rocsparse_complex_numIfEEEviPKiS4_PT2_S4_PiS4_S7_S7_d21rocsparse_index_base_imNS_24const_host_device_scalarIfEENS9_IdEENS9_IS5_EEb.numbered_sgpr, 38
	.set _ZN9rocsparseL17csrilu0_binsearchILj256ELj64ELb0E21rocsparse_complex_numIfEEEviPKiS4_PT2_S4_PiS4_S7_S7_d21rocsparse_index_base_imNS_24const_host_device_scalarIfEENS9_IdEENS9_IS5_EEb.num_named_barrier, 0
	.set _ZN9rocsparseL17csrilu0_binsearchILj256ELj64ELb0E21rocsparse_complex_numIfEEEviPKiS4_PT2_S4_PiS4_S7_S7_d21rocsparse_index_base_imNS_24const_host_device_scalarIfEENS9_IdEENS9_IS5_EEb.private_seg_size, 0
	.set _ZN9rocsparseL17csrilu0_binsearchILj256ELj64ELb0E21rocsparse_complex_numIfEEEviPKiS4_PT2_S4_PiS4_S7_S7_d21rocsparse_index_base_imNS_24const_host_device_scalarIfEENS9_IdEENS9_IS5_EEb.uses_vcc, 1
	.set _ZN9rocsparseL17csrilu0_binsearchILj256ELj64ELb0E21rocsparse_complex_numIfEEEviPKiS4_PT2_S4_PiS4_S7_S7_d21rocsparse_index_base_imNS_24const_host_device_scalarIfEENS9_IdEENS9_IS5_EEb.uses_flat_scratch, 0
	.set _ZN9rocsparseL17csrilu0_binsearchILj256ELj64ELb0E21rocsparse_complex_numIfEEEviPKiS4_PT2_S4_PiS4_S7_S7_d21rocsparse_index_base_imNS_24const_host_device_scalarIfEENS9_IdEENS9_IS5_EEb.has_dyn_sized_stack, 0
	.set _ZN9rocsparseL17csrilu0_binsearchILj256ELj64ELb0E21rocsparse_complex_numIfEEEviPKiS4_PT2_S4_PiS4_S7_S7_d21rocsparse_index_base_imNS_24const_host_device_scalarIfEENS9_IdEENS9_IS5_EEb.has_recursion, 0
	.set _ZN9rocsparseL17csrilu0_binsearchILj256ELj64ELb0E21rocsparse_complex_numIfEEEviPKiS4_PT2_S4_PiS4_S7_S7_d21rocsparse_index_base_imNS_24const_host_device_scalarIfEENS9_IdEENS9_IS5_EEb.has_indirect_call, 0
	.section	.AMDGPU.csdata,"",@progbits
; Kernel info:
; codeLenInByte = 2072
; TotalNumSgprs: 44
; NumVgprs: 28
; NumAgprs: 0
; TotalNumVgprs: 28
; ScratchSize: 0
; MemoryBound: 0
; FloatMode: 240
; IeeeMode: 1
; LDSByteSize: 0 bytes/workgroup (compile time only)
; SGPRBlocks: 5
; VGPRBlocks: 3
; NumSGPRsForWavesPerEU: 44
; NumVGPRsForWavesPerEU: 28
; AccumOffset: 28
; Occupancy: 8
; WaveLimiterHint : 1
; COMPUTE_PGM_RSRC2:SCRATCH_EN: 0
; COMPUTE_PGM_RSRC2:USER_SGPR: 2
; COMPUTE_PGM_RSRC2:TRAP_HANDLER: 0
; COMPUTE_PGM_RSRC2:TGID_X_EN: 1
; COMPUTE_PGM_RSRC2:TGID_Y_EN: 0
; COMPUTE_PGM_RSRC2:TGID_Z_EN: 0
; COMPUTE_PGM_RSRC2:TIDIG_COMP_CNT: 0
; COMPUTE_PGM_RSRC3_GFX90A:ACCUM_OFFSET: 6
; COMPUTE_PGM_RSRC3_GFX90A:TG_SPLIT: 0
	.section	.text._ZN9rocsparseL17csrilu0_binsearchILj256ELj64ELb1E21rocsparse_complex_numIdEEEviPKiS4_PT2_S4_PiS4_S7_S7_d21rocsparse_index_base_imNS_24const_host_device_scalarIfEENS9_IdEENS9_IS5_EEb,"axG",@progbits,_ZN9rocsparseL17csrilu0_binsearchILj256ELj64ELb1E21rocsparse_complex_numIdEEEviPKiS4_PT2_S4_PiS4_S7_S7_d21rocsparse_index_base_imNS_24const_host_device_scalarIfEENS9_IdEENS9_IS5_EEb,comdat
	.globl	_ZN9rocsparseL17csrilu0_binsearchILj256ELj64ELb1E21rocsparse_complex_numIdEEEviPKiS4_PT2_S4_PiS4_S7_S7_d21rocsparse_index_base_imNS_24const_host_device_scalarIfEENS9_IdEENS9_IS5_EEb ; -- Begin function _ZN9rocsparseL17csrilu0_binsearchILj256ELj64ELb1E21rocsparse_complex_numIdEEEviPKiS4_PT2_S4_PiS4_S7_S7_d21rocsparse_index_base_imNS_24const_host_device_scalarIfEENS9_IdEENS9_IS5_EEb
	.p2align	8
	.type	_ZN9rocsparseL17csrilu0_binsearchILj256ELj64ELb1E21rocsparse_complex_numIdEEEviPKiS4_PT2_S4_PiS4_S7_S7_d21rocsparse_index_base_imNS_24const_host_device_scalarIfEENS9_IdEENS9_IS5_EEb,@function
_ZN9rocsparseL17csrilu0_binsearchILj256ELj64ELb1E21rocsparse_complex_numIdEEEviPKiS4_PT2_S4_PiS4_S7_S7_d21rocsparse_index_base_imNS_24const_host_device_scalarIfEENS9_IdEENS9_IS5_EEb: ; @_ZN9rocsparseL17csrilu0_binsearchILj256ELj64ELb1E21rocsparse_complex_numIdEEEviPKiS4_PT2_S4_PiS4_S7_S7_d21rocsparse_index_base_imNS_24const_host_device_scalarIfEENS9_IdEENS9_IS5_EEb
; %bb.0:
	s_load_dword s3, s[0:1], 0x80
	s_load_dwordx8 s[24:31], s[0:1], 0x58
	s_load_dwordx2 s[4:5], s[0:1], 0x78
	s_load_dwordx2 s[34:35], s[0:1], 0x50
	s_waitcnt lgkmcnt(0)
	s_bitcmp1_b32 s3, 0
	s_cselect_b64 s[8:9], -1, 0
	v_mov_b64_e32 v[2:3], s[30:31]
	s_cmp_eq_u32 s35, 0
	s_cselect_b64 s[14:15], -1, 0
	s_cmp_lg_u32 s35, 0
	s_cselect_b64 s[10:11], -1, 0
	s_or_b64 s[16:17], s[14:15], s[8:9]
	s_xor_b64 s[6:7], s[16:17], -1
	s_and_b64 s[12:13], s[14:15], exec
	s_cselect_b32 s13, 0, s29
	s_cselect_b32 s12, 0, s28
	s_and_b64 vcc, exec, s[16:17]
	scratch_store_dwordx2 off, v[2:3], off
	s_cbranch_vccnz .LBB39_2
; %bb.1:
	s_load_dword s3, s[26:27], 0x0
	s_mov_b64 s[12:13], s[28:29]
	s_waitcnt lgkmcnt(0)
	v_mov_b32_e32 v23, s3
	s_andn2_b64 vcc, exec, s[6:7]
	v_mov_b64_e32 v[12:13], s[12:13]
	s_cbranch_vccz .LBB39_3
	s_branch .LBB39_4
.LBB39_2:
	v_mov_b32_e32 v1, s26
	v_cndmask_b32_e64 v23, v1, 0, s[14:15]
	s_andn2_b64 vcc, exec, s[6:7]
	v_mov_b64_e32 v[12:13], s[12:13]
	s_cbranch_vccnz .LBB39_4
.LBB39_3:
	v_mov_b64_e32 v[2:3], s[28:29]
	flat_load_dwordx2 v[12:13], v[2:3]
.LBB39_4:
	v_cndmask_b32_e64 v1, 0, 1, s[10:11]
	v_mov_b64_e32 v[26:27], 0
	v_cmp_ne_u32_e64 s[6:7], 1, v1
	s_andn2_b64 vcc, exec, s[10:11]
	v_mov_b64_e32 v[28:29], 0
	s_cbranch_vccnz .LBB39_7
; %bb.5:
	s_xor_b64 s[12:13], s[8:9], -1
	s_mov_b64 s[10:11], src_private_base
	s_and_b64 s[8:9], s[8:9], exec
	s_cselect_b32 s3, s11, s31
	s_cselect_b32 s8, 0, s30
	v_mov_b32_e32 v2, s8
	v_mov_b32_e32 v3, s3
	flat_load_dwordx2 v[26:27], v[2:3]
	s_andn2_b64 vcc, exec, s[12:13]
	v_mov_b64_e32 v[28:29], s[4:5]
	s_cbranch_vccnz .LBB39_7
; %bb.6:
	v_mov_b64_e32 v[2:3], s[30:31]
	flat_load_dwordx2 v[28:29], v[2:3] offset:8
.LBB39_7:
	s_load_dword s3, s[0:1], 0x0
	s_lshl_b32 s2, s2, 2
	v_lshrrev_b32_e32 v1, 6, v0
	s_and_b32 s2, s2, 0x3fffffc
	v_or_b32_e32 v1, s2, v1
	s_waitcnt lgkmcnt(0)
	v_cmp_gt_i32_e32 vcc, s3, v1
	s_and_saveexec_b64 s[2:3], vcc
	s_cbranch_execz .LBB39_51
; %bb.8:
	s_load_dwordx16 s[8:23], s[0:1], 0x8
	v_lshlrev_b32_e32 v1, 2, v1
	v_and_b32_e32 v22, 63, v0
	s_waitcnt lgkmcnt(0)
	global_load_dword v10, v1, s[18:19]
	s_waitcnt vmcnt(0)
	v_ashrrev_i32_e32 v11, 31, v10
	v_lshlrev_b64 v[2:3], 2, v[10:11]
	v_lshl_add_u64 v[4:5], s[14:15], 0, v[2:3]
	v_lshl_add_u64 v[2:3], s[8:9], 0, v[2:3]
	global_load_dword v1, v[2:3], off
	global_load_dword v14, v[4:5], off
	s_waitcnt vmcnt(1)
	v_subrev_u32_e32 v16, s34, v1
	s_waitcnt vmcnt(0)
	v_cmp_lt_i32_e32 vcc, v16, v14
	s_and_saveexec_b64 s[4:5], vcc
	s_cbranch_execz .LBB39_27
; %bb.9:
	global_load_dword v0, v[2:3], off offset:4
	v_add_u32_e32 v15, 1, v22
	s_mov_b64 s[18:19], 0
	s_waitcnt vmcnt(0)
	v_xad_u32 v24, s34, -1, v0
	s_branch .LBB39_12
.LBB39_10:                              ;   in Loop: Header=BB39_12 Depth=1
	s_or_b64 exec, exec, s[26:27]
	v_cmp_ge_i32_e32 vcc, v16, v14
	s_orn2_b64 s[26:27], vcc, exec
.LBB39_11:                              ;   in Loop: Header=BB39_12 Depth=1
	s_or_b64 exec, exec, s[2:3]
	s_and_b64 s[2:3], exec, s[26:27]
	s_or_b64 s[18:19], s[2:3], s[18:19]
	s_andn2_b64 exec, exec, s[18:19]
	s_cbranch_execz .LBB39_27
.LBB39_12:                              ; =>This Loop Header: Depth=1
                                        ;     Child Loop BB39_15 Depth 2
                                        ;       Child Loop BB39_16 Depth 3
                                        ;     Child Loop BB39_21 Depth 2
                                        ;       Child Loop BB39_23 Depth 3
	v_ashrrev_i32_e32 v17, 31, v16
	v_lshl_add_u64 v[0:1], v[16:17], 2, s[10:11]
	global_load_dword v0, v[0:1], off
	v_lshl_add_u64 v[18:19], v[16:17], 4, s[12:13]
	global_load_dwordx4 v[2:5], v[18:19], off
	s_waitcnt vmcnt(1)
	v_subrev_u32_e32 v0, s34, v0
	v_ashrrev_i32_e32 v1, 31, v0
	v_lshlrev_b64 v[0:1], 2, v[0:1]
	v_lshl_add_u64 v[8:9], s[8:9], 0, v[0:1]
	v_lshl_add_u64 v[20:21], s[14:15], 0, v[0:1]
	v_lshl_add_u64 v[0:1], s[16:17], 0, v[0:1]
	global_load_dword v7, v[8:9], off offset:4
	global_load_dword v6, v[20:21], off
	global_load_dword v17, v[0:1], off sc1
	s_waitcnt vmcnt(0)
	v_cmp_eq_u32_e32 vcc, 0, v17
	s_and_saveexec_b64 s[2:3], vcc
	s_cbranch_execz .LBB39_17
; %bb.13:                               ;   in Loop: Header=BB39_12 Depth=1
	s_mov_b32 s28, 0
	s_mov_b64 s[26:27], 0
	s_branch .LBB39_15
.LBB39_14:                              ;   in Loop: Header=BB39_15 Depth=2
	global_load_dword v8, v[0:1], off sc1
	s_cmpk_lt_u32 s28, 0xf43
	s_cselect_b64 s[30:31], -1, 0
	s_cmp_lg_u64 s[30:31], 0
	s_addc_u32 s28, s28, 0
	s_waitcnt vmcnt(0)
	v_cmp_ne_u32_e32 vcc, 0, v8
	s_or_b64 s[26:27], vcc, s[26:27]
	s_andn2_b64 exec, exec, s[26:27]
	s_cbranch_execz .LBB39_17
.LBB39_15:                              ;   Parent Loop BB39_12 Depth=1
                                        ; =>  This Loop Header: Depth=2
                                        ;       Child Loop BB39_16 Depth 3
	s_cmp_eq_u32 s28, 0
	s_mov_b32 s29, s28
	s_cbranch_scc1 .LBB39_14
.LBB39_16:                              ;   Parent Loop BB39_12 Depth=1
                                        ;     Parent Loop BB39_15 Depth=2
                                        ; =>    This Inner Loop Header: Depth=3
	s_add_i32 s29, s29, -1
	s_cmp_eq_u32 s29, 0
	s_sleep 1
	s_cbranch_scc0 .LBB39_16
	s_branch .LBB39_14
.LBB39_17:                              ;   in Loop: Header=BB39_12 Depth=1
	s_or_b64 exec, exec, s[2:3]
	v_subrev_u32_e32 v17, s34, v7
	v_add_u32_e32 v0, -1, v17
	v_cmp_eq_u32_e32 vcc, -1, v6
	buffer_inv sc1
	s_mov_b64 s[26:27], -1
	v_cndmask_b32_e32 v20, v6, v0, vcc
	v_ashrrev_i32_e32 v21, 31, v20
	v_lshl_add_u64 v[0:1], v[20:21], 4, s[12:13]
	global_load_dwordx4 v[6:9], v[0:1], off
	s_waitcnt vmcnt(0)
	v_cmp_neq_f64_e32 vcc, 0, v[6:7]
	v_cmp_neq_f64_e64 s[2:3], 0, v[8:9]
	s_or_b64 s[2:3], vcc, s[2:3]
	s_and_saveexec_b64 s[28:29], s[2:3]
	s_xor_b64 s[2:3], exec, s[28:29]
	s_cbranch_execz .LBB39_11
; %bb.18:                               ;   in Loop: Header=BB39_12 Depth=1
	v_mul_f64 v[0:1], v[8:9], v[8:9]
	v_fmac_f64_e32 v[0:1], v[6:7], v[6:7]
	v_div_scale_f64 v[30:31], s[26:27], v[0:1], v[0:1], 1.0
	v_rcp_f64_e32 v[32:33], v[30:31]
	v_div_scale_f64 v[34:35], vcc, 1.0, v[0:1], 1.0
	v_add_u32_e32 v16, 1, v16
	v_fma_f64 v[36:37], -v[30:31], v[32:33], 1.0
	v_fmac_f64_e32 v[32:33], v[32:33], v[36:37]
	v_fma_f64 v[36:37], -v[30:31], v[32:33], 1.0
	v_fmac_f64_e32 v[32:33], v[32:33], v[36:37]
	v_mul_f64 v[36:37], v[34:35], v[32:33]
	v_fma_f64 v[30:31], -v[30:31], v[36:37], v[34:35]
	v_div_fmas_f64 v[30:31], v[30:31], v[32:33], v[36:37]
	v_div_fixup_f64 v[30:31], v[30:31], v[0:1], 1.0
	v_mul_f64 v[0:1], v[4:5], v[8:9]
	v_fmac_f64_e32 v[0:1], v[2:3], v[6:7]
	v_mul_f64 v[2:3], v[8:9], -v[2:3]
	v_fmac_f64_e32 v[2:3], v[4:5], v[6:7]
	v_add_u32_e32 v4, v15, v20
	v_mul_f64 v[0:1], v[0:1], v[30:31]
	v_mul_f64 v[2:3], v[2:3], v[30:31]
	v_cmp_lt_i32_e32 vcc, v4, v17
	global_store_dwordx4 v[18:19], v[0:3], off
	s_and_saveexec_b64 s[26:27], vcc
	s_cbranch_execz .LBB39_10
; %bb.19:                               ;   in Loop: Header=BB39_12 Depth=1
	s_mov_b64 s[28:29], 0
	v_mov_b32_e32 v6, v16
	s_branch .LBB39_21
.LBB39_20:                              ;   in Loop: Header=BB39_21 Depth=2
	s_or_b64 exec, exec, s[30:31]
	v_add_u32_e32 v4, 64, v4
	v_cmp_ge_i32_e32 vcc, v4, v17
	s_or_b64 s[28:29], vcc, s[28:29]
	s_andn2_b64 exec, exec, s[28:29]
	s_cbranch_execz .LBB39_10
.LBB39_21:                              ;   Parent Loop BB39_12 Depth=1
                                        ; =>  This Loop Header: Depth=2
                                        ;       Child Loop BB39_23 Depth 3
	v_add_u32_e32 v7, v6, v24
	v_ashrrev_i32_e32 v5, 31, v4
	v_ashrrev_i32_e32 v8, 1, v7
	v_lshl_add_u64 v[18:19], v[4:5], 2, s[10:11]
	v_ashrrev_i32_e32 v9, 31, v8
	v_lshl_add_u64 v[20:21], v[8:9], 2, s[10:11]
	global_load_dword v7, v[18:19], off
	global_load_dword v9, v[20:21], off
	v_cmp_lt_i32_e32 vcc, v6, v24
	s_and_saveexec_b64 s[30:31], vcc
	s_cbranch_execz .LBB39_25
; %bb.22:                               ;   in Loop: Header=BB39_21 Depth=2
	s_mov_b64 s[36:37], 0
	v_mov_b32_e32 v18, v24
.LBB39_23:                              ;   Parent Loop BB39_12 Depth=1
                                        ;     Parent Loop BB39_21 Depth=2
                                        ; =>    This Inner Loop Header: Depth=3
	v_add_u32_e32 v19, 1, v8
	s_waitcnt vmcnt(0)
	v_cmp_lt_i32_e32 vcc, v9, v7
	s_nop 1
	v_cndmask_b32_e32 v18, v8, v18, vcc
	v_cndmask_b32_e32 v6, v6, v19, vcc
	v_add_u32_e32 v8, v18, v6
	v_ashrrev_i32_e32 v8, 1, v8
	v_ashrrev_i32_e32 v9, 31, v8
	v_lshl_add_u64 v[20:21], v[8:9], 2, s[10:11]
	global_load_dword v9, v[20:21], off
	v_cmp_ge_i32_e32 vcc, v6, v18
	s_or_b64 s[36:37], vcc, s[36:37]
	s_andn2_b64 exec, exec, s[36:37]
	s_cbranch_execnz .LBB39_23
; %bb.24:                               ;   in Loop: Header=BB39_21 Depth=2
	s_or_b64 exec, exec, s[36:37]
.LBB39_25:                              ;   in Loop: Header=BB39_21 Depth=2
	s_or_b64 exec, exec, s[30:31]
	s_waitcnt vmcnt(0)
	v_cmp_eq_u32_e32 vcc, v9, v7
	s_and_saveexec_b64 s[30:31], vcc
	s_cbranch_execz .LBB39_20
; %bb.26:                               ;   in Loop: Header=BB39_21 Depth=2
	v_lshl_add_u64 v[8:9], v[4:5], 4, s[12:13]
	v_ashrrev_i32_e32 v7, 31, v6
	v_lshl_add_u64 v[34:35], v[6:7], 4, s[12:13]
	global_load_dwordx4 v[18:21], v[8:9], off
	global_load_dwordx4 v[30:33], v[34:35], off
	s_waitcnt vmcnt(0)
	v_fma_f64 v[30:31], -v[0:1], v[18:19], v[30:31]
	v_fma_f64 v[8:9], -v[2:3], v[18:19], v[32:33]
	v_fmac_f64_e32 v[30:31], v[2:3], v[20:21]
	v_fma_f64 v[32:33], -v[0:1], v[20:21], v[8:9]
	global_store_dwordx4 v[34:35], v[30:33], off
	s_branch .LBB39_20
.LBB39_27:
	s_or_b64 exec, exec, s[4:5]
	v_cmp_lt_i32_e32 vcc, -1, v14
	s_and_saveexec_b64 s[2:3], vcc
	s_cbranch_execz .LBB39_49
; %bb.28:
	v_mov_b32_e32 v15, 0
	v_lshl_add_u64 v[4:5], v[14:15], 4, s[12:13]
	global_load_dwordx4 v[0:3], v[4:5], off
                                        ; implicit-def: $vgpr14_vgpr15
	s_waitcnt vmcnt(0)
	v_xor_b32_e32 v7, 0x80000000, v1
	v_cmp_gt_f64_e32 vcc, 0, v[0:1]
	v_xor_b32_e32 v8, 0x80000000, v3
	v_mov_b32_e32 v6, v0
	v_cndmask_b32_e32 v7, v1, v7, vcc
	v_cmp_gt_f64_e32 vcc, 0, v[2:3]
	s_nop 1
	v_cndmask_b32_e32 v9, v3, v8, vcc
	v_mov_b32_e32 v8, v2
	v_cmp_ngt_f64_e32 vcc, v[6:7], v[8:9]
	s_and_saveexec_b64 s[4:5], vcc
	s_xor_b64 s[4:5], exec, s[4:5]
	s_cbranch_execz .LBB39_32
; %bb.29:
	v_mov_b64_e32 v[14:15], 0
	v_cmp_neq_f64_e32 vcc, 0, v[2:3]
	s_and_saveexec_b64 s[8:9], vcc
	s_cbranch_execz .LBB39_31
; %bb.30:
	v_div_scale_f64 v[14:15], s[10:11], v[8:9], v[8:9], v[6:7]
	v_rcp_f64_e32 v[16:17], v[14:15]
	v_div_scale_f64 v[18:19], vcc, v[6:7], v[8:9], v[6:7]
	s_mov_b32 s10, 0
	v_fma_f64 v[20:21], -v[14:15], v[16:17], 1.0
	v_fmac_f64_e32 v[16:17], v[16:17], v[20:21]
	v_fma_f64 v[20:21], -v[14:15], v[16:17], 1.0
	v_fmac_f64_e32 v[16:17], v[16:17], v[20:21]
	v_mul_f64 v[20:21], v[18:19], v[16:17]
	v_fma_f64 v[14:15], -v[14:15], v[20:21], v[18:19]
	v_div_fmas_f64 v[14:15], v[14:15], v[16:17], v[20:21]
	v_div_fixup_f64 v[6:7], v[14:15], v[8:9], v[6:7]
	v_fma_f64 v[6:7], v[6:7], v[6:7], 1.0
	s_brev_b32 s11, 8
	v_mov_b32_e32 v14, 0x100
	v_cmp_gt_f64_e32 vcc, s[10:11], v[6:7]
	s_nop 1
	v_cndmask_b32_e32 v14, 0, v14, vcc
	v_ldexp_f64 v[6:7], v[6:7], v14
	v_rsq_f64_e32 v[14:15], v[6:7]
	s_nop 0
	v_mul_f64 v[16:17], v[6:7], v[14:15]
	v_mul_f64 v[14:15], v[14:15], 0.5
	v_fma_f64 v[18:19], -v[14:15], v[16:17], 0.5
	v_fmac_f64_e32 v[16:17], v[16:17], v[18:19]
	v_fma_f64 v[20:21], -v[16:17], v[16:17], v[6:7]
	v_fmac_f64_e32 v[14:15], v[14:15], v[18:19]
	v_fmac_f64_e32 v[16:17], v[20:21], v[14:15]
	v_fma_f64 v[18:19], -v[16:17], v[16:17], v[6:7]
	v_fmac_f64_e32 v[16:17], v[18:19], v[14:15]
	v_mov_b32_e32 v14, 0xffffff80
	v_cndmask_b32_e32 v14, 0, v14, vcc
	v_ldexp_f64 v[14:15], v[16:17], v14
	v_mov_b32_e32 v16, 0x260
	v_cmp_class_f64_e32 vcc, v[6:7], v16
	s_nop 1
	v_cndmask_b32_e32 v7, v15, v7, vcc
	v_cndmask_b32_e32 v6, v14, v6, vcc
	v_mul_f64 v[14:15], v[8:9], v[6:7]
.LBB39_31:
	s_or_b64 exec, exec, s[8:9]
                                        ; implicit-def: $vgpr6_vgpr7
                                        ; implicit-def: $vgpr8_vgpr9
.LBB39_32:
	s_andn2_saveexec_b64 s[4:5], s[4:5]
	s_cbranch_execz .LBB39_34
; %bb.33:
	v_div_scale_f64 v[14:15], s[8:9], v[6:7], v[6:7], v[8:9]
	v_rcp_f64_e32 v[16:17], v[14:15]
	v_div_scale_f64 v[18:19], vcc, v[8:9], v[6:7], v[8:9]
	s_mov_b32 s8, 0
	v_fma_f64 v[20:21], -v[14:15], v[16:17], 1.0
	v_fmac_f64_e32 v[16:17], v[16:17], v[20:21]
	v_fma_f64 v[20:21], -v[14:15], v[16:17], 1.0
	v_fmac_f64_e32 v[16:17], v[16:17], v[20:21]
	v_mul_f64 v[20:21], v[18:19], v[16:17]
	v_fma_f64 v[14:15], -v[14:15], v[20:21], v[18:19]
	v_div_fmas_f64 v[14:15], v[14:15], v[16:17], v[20:21]
	v_div_fixup_f64 v[8:9], v[14:15], v[6:7], v[8:9]
	v_fma_f64 v[8:9], v[8:9], v[8:9], 1.0
	s_brev_b32 s9, 8
	v_mov_b32_e32 v14, 0x100
	v_cmp_gt_f64_e32 vcc, s[8:9], v[8:9]
	s_nop 1
	v_cndmask_b32_e32 v14, 0, v14, vcc
	v_ldexp_f64 v[8:9], v[8:9], v14
	v_rsq_f64_e32 v[14:15], v[8:9]
	s_nop 0
	v_mul_f64 v[16:17], v[8:9], v[14:15]
	v_mul_f64 v[14:15], v[14:15], 0.5
	v_fma_f64 v[18:19], -v[14:15], v[16:17], 0.5
	v_fmac_f64_e32 v[16:17], v[16:17], v[18:19]
	v_fma_f64 v[20:21], -v[16:17], v[16:17], v[8:9]
	v_fmac_f64_e32 v[14:15], v[14:15], v[18:19]
	v_fmac_f64_e32 v[16:17], v[20:21], v[14:15]
	v_fma_f64 v[18:19], -v[16:17], v[16:17], v[8:9]
	v_fmac_f64_e32 v[16:17], v[18:19], v[14:15]
	v_mov_b32_e32 v14, 0xffffff80
	v_cndmask_b32_e32 v14, 0, v14, vcc
	v_ldexp_f64 v[14:15], v[16:17], v14
	v_mov_b32_e32 v16, 0x260
	v_cmp_class_f64_e32 vcc, v[8:9], v16
	s_nop 1
	v_cndmask_b32_e32 v9, v15, v9, vcc
	v_cndmask_b32_e32 v8, v14, v8, vcc
	v_mul_f64 v[14:15], v[6:7], v[8:9]
.LBB39_34:
	s_or_b64 exec, exec, s[4:5]
	v_cmp_eq_u32_e64 s[4:5], 0, v22
	s_and_b64 vcc, exec, s[6:7]
	s_mov_b64 s[6:7], -1
	s_cbranch_vccnz .LBB39_38
; %bb.35:
	s_cmp_eq_u64 s[24:25], 8
	v_cvt_f64_f32_e32 v[6:7], v23
	s_cselect_b64 vcc, -1, 0
	v_cndmask_b32_e32 v7, v7, v13, vcc
	v_cndmask_b32_e32 v6, v6, v12, vcc
	v_cmp_le_f64_e32 vcc, v[14:15], v[6:7]
	s_and_b64 s[8:9], s[4:5], vcc
	s_and_saveexec_b64 s[6:7], s[8:9]
	s_cbranch_execz .LBB39_37
; %bb.36:
	global_store_dwordx4 v[4:5], v[26:29], off
.LBB39_37:
	s_or_b64 exec, exec, s[6:7]
	s_mov_b64 s[6:7], 0
.LBB39_38:
	s_andn2_b64 vcc, exec, s[6:7]
	s_cbranch_vccnz .LBB39_49
; %bb.39:
	s_load_dwordx2 s[0:1], s[0:1], 0x48
	v_add_u32_e32 v4, s34, v10
	s_waitcnt lgkmcnt(0)
	v_cmp_ge_f64_e32 vcc, s[0:1], v[14:15]
	s_and_b64 s[6:7], s[4:5], vcc
	s_and_saveexec_b64 s[0:1], s[6:7]
	s_cbranch_execz .LBB39_44
; %bb.40:
	s_mov_b64 s[6:7], exec
	s_brev_b32 s8, -2
.LBB39_41:                              ; =>This Inner Loop Header: Depth=1
	s_ff1_i32_b64 s9, s[6:7]
	v_readlane_b32 s12, v4, s9
	s_lshl_b64 s[10:11], 1, s9
	s_min_i32 s8, s8, s12
	s_andn2_b64 s[6:7], s[6:7], s[10:11]
	s_cmp_lg_u64 s[6:7], 0
	s_cbranch_scc1 .LBB39_41
; %bb.42:
	v_mbcnt_lo_u32_b32 v5, exec_lo, 0
	v_mbcnt_hi_u32_b32 v5, exec_hi, v5
	v_cmp_eq_u32_e32 vcc, 0, v5
	s_and_saveexec_b64 s[6:7], vcc
	s_xor_b64 s[6:7], exec, s[6:7]
	s_cbranch_execz .LBB39_44
; %bb.43:
	v_mov_b32_e32 v5, 0
	v_mov_b32_e32 v6, s8
	global_atomic_smin v5, v6, s[22:23]
.LBB39_44:
	s_or_b64 exec, exec, s[0:1]
	v_cmp_eq_f64_e32 vcc, 0, v[0:1]
	v_cmp_eq_f64_e64 s[0:1], 0, v[2:3]
	s_and_b64 s[0:1], vcc, s[0:1]
	s_and_b64 s[0:1], s[4:5], s[0:1]
	s_and_b64 exec, exec, s[0:1]
	s_cbranch_execz .LBB39_49
; %bb.45:
	s_mov_b64 s[0:1], exec
	s_brev_b32 s4, -2
.LBB39_46:                              ; =>This Inner Loop Header: Depth=1
	s_ff1_i32_b64 s5, s[0:1]
	v_readlane_b32 s8, v4, s5
	s_lshl_b64 s[6:7], 1, s5
	s_min_i32 s4, s4, s8
	s_andn2_b64 s[0:1], s[0:1], s[6:7]
	s_cmp_lg_u64 s[0:1], 0
	s_cbranch_scc1 .LBB39_46
; %bb.47:
	v_mbcnt_lo_u32_b32 v0, exec_lo, 0
	v_mbcnt_hi_u32_b32 v0, exec_hi, v0
	v_cmp_eq_u32_e32 vcc, 0, v0
	s_and_saveexec_b64 s[0:1], vcc
	s_xor_b64 s[0:1], exec, s[0:1]
	s_cbranch_execz .LBB39_49
; %bb.48:
	v_mov_b32_e32 v0, 0
	v_mov_b32_e32 v1, s4
	global_atomic_smin v0, v1, s[20:21]
.LBB39_49:
	s_or_b64 exec, exec, s[2:3]
	v_cmp_eq_u32_e32 vcc, 0, v22
	buffer_wbl2 sc1
	s_waitcnt vmcnt(0)
	buffer_inv sc1
	s_and_b64 exec, exec, vcc
	s_cbranch_execz .LBB39_51
; %bb.50:
	v_lshl_add_u64 v[0:1], v[10:11], 2, s[16:17]
	v_mov_b32_e32 v2, 1
	buffer_wbl2 sc1
	global_store_dword v[0:1], v2, off sc1
.LBB39_51:
	s_endpgm
	.section	.rodata,"a",@progbits
	.p2align	6, 0x0
	.amdhsa_kernel _ZN9rocsparseL17csrilu0_binsearchILj256ELj64ELb1E21rocsparse_complex_numIdEEEviPKiS4_PT2_S4_PiS4_S7_S7_d21rocsparse_index_base_imNS_24const_host_device_scalarIfEENS9_IdEENS9_IS5_EEb
		.amdhsa_group_segment_fixed_size 0
		.amdhsa_private_segment_fixed_size 16
		.amdhsa_kernarg_size 132
		.amdhsa_user_sgpr_count 2
		.amdhsa_user_sgpr_dispatch_ptr 0
		.amdhsa_user_sgpr_queue_ptr 0
		.amdhsa_user_sgpr_kernarg_segment_ptr 1
		.amdhsa_user_sgpr_dispatch_id 0
		.amdhsa_user_sgpr_kernarg_preload_length 0
		.amdhsa_user_sgpr_kernarg_preload_offset 0
		.amdhsa_user_sgpr_private_segment_size 0
		.amdhsa_uses_dynamic_stack 0
		.amdhsa_enable_private_segment 1
		.amdhsa_system_sgpr_workgroup_id_x 1
		.amdhsa_system_sgpr_workgroup_id_y 0
		.amdhsa_system_sgpr_workgroup_id_z 0
		.amdhsa_system_sgpr_workgroup_info 0
		.amdhsa_system_vgpr_workitem_id 0
		.amdhsa_next_free_vgpr 38
		.amdhsa_next_free_sgpr 38
		.amdhsa_accum_offset 40
		.amdhsa_reserve_vcc 1
		.amdhsa_float_round_mode_32 0
		.amdhsa_float_round_mode_16_64 0
		.amdhsa_float_denorm_mode_32 3
		.amdhsa_float_denorm_mode_16_64 3
		.amdhsa_dx10_clamp 1
		.amdhsa_ieee_mode 1
		.amdhsa_fp16_overflow 0
		.amdhsa_tg_split 0
		.amdhsa_exception_fp_ieee_invalid_op 0
		.amdhsa_exception_fp_denorm_src 0
		.amdhsa_exception_fp_ieee_div_zero 0
		.amdhsa_exception_fp_ieee_overflow 0
		.amdhsa_exception_fp_ieee_underflow 0
		.amdhsa_exception_fp_ieee_inexact 0
		.amdhsa_exception_int_div_zero 0
	.end_amdhsa_kernel
	.section	.text._ZN9rocsparseL17csrilu0_binsearchILj256ELj64ELb1E21rocsparse_complex_numIdEEEviPKiS4_PT2_S4_PiS4_S7_S7_d21rocsparse_index_base_imNS_24const_host_device_scalarIfEENS9_IdEENS9_IS5_EEb,"axG",@progbits,_ZN9rocsparseL17csrilu0_binsearchILj256ELj64ELb1E21rocsparse_complex_numIdEEEviPKiS4_PT2_S4_PiS4_S7_S7_d21rocsparse_index_base_imNS_24const_host_device_scalarIfEENS9_IdEENS9_IS5_EEb,comdat
.Lfunc_end39:
	.size	_ZN9rocsparseL17csrilu0_binsearchILj256ELj64ELb1E21rocsparse_complex_numIdEEEviPKiS4_PT2_S4_PiS4_S7_S7_d21rocsparse_index_base_imNS_24const_host_device_scalarIfEENS9_IdEENS9_IS5_EEb, .Lfunc_end39-_ZN9rocsparseL17csrilu0_binsearchILj256ELj64ELb1E21rocsparse_complex_numIdEEEviPKiS4_PT2_S4_PiS4_S7_S7_d21rocsparse_index_base_imNS_24const_host_device_scalarIfEENS9_IdEENS9_IS5_EEb
                                        ; -- End function
	.set _ZN9rocsparseL17csrilu0_binsearchILj256ELj64ELb1E21rocsparse_complex_numIdEEEviPKiS4_PT2_S4_PiS4_S7_S7_d21rocsparse_index_base_imNS_24const_host_device_scalarIfEENS9_IdEENS9_IS5_EEb.num_vgpr, 38
	.set _ZN9rocsparseL17csrilu0_binsearchILj256ELj64ELb1E21rocsparse_complex_numIdEEEviPKiS4_PT2_S4_PiS4_S7_S7_d21rocsparse_index_base_imNS_24const_host_device_scalarIfEENS9_IdEENS9_IS5_EEb.num_agpr, 0
	.set _ZN9rocsparseL17csrilu0_binsearchILj256ELj64ELb1E21rocsparse_complex_numIdEEEviPKiS4_PT2_S4_PiS4_S7_S7_d21rocsparse_index_base_imNS_24const_host_device_scalarIfEENS9_IdEENS9_IS5_EEb.numbered_sgpr, 38
	.set _ZN9rocsparseL17csrilu0_binsearchILj256ELj64ELb1E21rocsparse_complex_numIdEEEviPKiS4_PT2_S4_PiS4_S7_S7_d21rocsparse_index_base_imNS_24const_host_device_scalarIfEENS9_IdEENS9_IS5_EEb.num_named_barrier, 0
	.set _ZN9rocsparseL17csrilu0_binsearchILj256ELj64ELb1E21rocsparse_complex_numIdEEEviPKiS4_PT2_S4_PiS4_S7_S7_d21rocsparse_index_base_imNS_24const_host_device_scalarIfEENS9_IdEENS9_IS5_EEb.private_seg_size, 16
	.set _ZN9rocsparseL17csrilu0_binsearchILj256ELj64ELb1E21rocsparse_complex_numIdEEEviPKiS4_PT2_S4_PiS4_S7_S7_d21rocsparse_index_base_imNS_24const_host_device_scalarIfEENS9_IdEENS9_IS5_EEb.uses_vcc, 1
	.set _ZN9rocsparseL17csrilu0_binsearchILj256ELj64ELb1E21rocsparse_complex_numIdEEEviPKiS4_PT2_S4_PiS4_S7_S7_d21rocsparse_index_base_imNS_24const_host_device_scalarIfEENS9_IdEENS9_IS5_EEb.uses_flat_scratch, 0
	.set _ZN9rocsparseL17csrilu0_binsearchILj256ELj64ELb1E21rocsparse_complex_numIdEEEviPKiS4_PT2_S4_PiS4_S7_S7_d21rocsparse_index_base_imNS_24const_host_device_scalarIfEENS9_IdEENS9_IS5_EEb.has_dyn_sized_stack, 0
	.set _ZN9rocsparseL17csrilu0_binsearchILj256ELj64ELb1E21rocsparse_complex_numIdEEEviPKiS4_PT2_S4_PiS4_S7_S7_d21rocsparse_index_base_imNS_24const_host_device_scalarIfEENS9_IdEENS9_IS5_EEb.has_recursion, 0
	.set _ZN9rocsparseL17csrilu0_binsearchILj256ELj64ELb1E21rocsparse_complex_numIdEEEviPKiS4_PT2_S4_PiS4_S7_S7_d21rocsparse_index_base_imNS_24const_host_device_scalarIfEENS9_IdEENS9_IS5_EEb.has_indirect_call, 0
	.section	.AMDGPU.csdata,"",@progbits
; Kernel info:
; codeLenInByte = 2188
; TotalNumSgprs: 44
; NumVgprs: 38
; NumAgprs: 0
; TotalNumVgprs: 38
; ScratchSize: 16
; MemoryBound: 0
; FloatMode: 240
; IeeeMode: 1
; LDSByteSize: 0 bytes/workgroup (compile time only)
; SGPRBlocks: 5
; VGPRBlocks: 4
; NumSGPRsForWavesPerEU: 44
; NumVGPRsForWavesPerEU: 38
; AccumOffset: 40
; Occupancy: 8
; WaveLimiterHint : 1
; COMPUTE_PGM_RSRC2:SCRATCH_EN: 1
; COMPUTE_PGM_RSRC2:USER_SGPR: 2
; COMPUTE_PGM_RSRC2:TRAP_HANDLER: 0
; COMPUTE_PGM_RSRC2:TGID_X_EN: 1
; COMPUTE_PGM_RSRC2:TGID_Y_EN: 0
; COMPUTE_PGM_RSRC2:TGID_Z_EN: 0
; COMPUTE_PGM_RSRC2:TIDIG_COMP_CNT: 0
; COMPUTE_PGM_RSRC3_GFX90A:ACCUM_OFFSET: 9
; COMPUTE_PGM_RSRC3_GFX90A:TG_SPLIT: 0
	.section	.text._ZN9rocsparseL12csrilu0_hashILj256ELj32ELj1E21rocsparse_complex_numIdEEEviPKiS4_PT2_S4_PiS4_S7_S7_d21rocsparse_index_base_imNS_24const_host_device_scalarIfEENS9_IdEENS9_IS5_EEb,"axG",@progbits,_ZN9rocsparseL12csrilu0_hashILj256ELj32ELj1E21rocsparse_complex_numIdEEEviPKiS4_PT2_S4_PiS4_S7_S7_d21rocsparse_index_base_imNS_24const_host_device_scalarIfEENS9_IdEENS9_IS5_EEb,comdat
	.globl	_ZN9rocsparseL12csrilu0_hashILj256ELj32ELj1E21rocsparse_complex_numIdEEEviPKiS4_PT2_S4_PiS4_S7_S7_d21rocsparse_index_base_imNS_24const_host_device_scalarIfEENS9_IdEENS9_IS5_EEb ; -- Begin function _ZN9rocsparseL12csrilu0_hashILj256ELj32ELj1E21rocsparse_complex_numIdEEEviPKiS4_PT2_S4_PiS4_S7_S7_d21rocsparse_index_base_imNS_24const_host_device_scalarIfEENS9_IdEENS9_IS5_EEb
	.p2align	8
	.type	_ZN9rocsparseL12csrilu0_hashILj256ELj32ELj1E21rocsparse_complex_numIdEEEviPKiS4_PT2_S4_PiS4_S7_S7_d21rocsparse_index_base_imNS_24const_host_device_scalarIfEENS9_IdEENS9_IS5_EEb,@function
_ZN9rocsparseL12csrilu0_hashILj256ELj32ELj1E21rocsparse_complex_numIdEEEviPKiS4_PT2_S4_PiS4_S7_S7_d21rocsparse_index_base_imNS_24const_host_device_scalarIfEENS9_IdEENS9_IS5_EEb: ; @_ZN9rocsparseL12csrilu0_hashILj256ELj32ELj1E21rocsparse_complex_numIdEEEviPKiS4_PT2_S4_PiS4_S7_S7_d21rocsparse_index_base_imNS_24const_host_device_scalarIfEENS9_IdEENS9_IS5_EEb
; %bb.0:
	s_load_dword s3, s[0:1], 0x80
	s_load_dwordx8 s[24:31], s[0:1], 0x58
	s_load_dwordx2 s[4:5], s[0:1], 0x78
	s_load_dwordx2 s[34:35], s[0:1], 0x50
	s_waitcnt lgkmcnt(0)
	s_bitcmp1_b32 s3, 0
	s_cselect_b64 s[8:9], -1, 0
	v_mov_b64_e32 v[2:3], s[30:31]
	s_cmp_eq_u32 s35, 0
	s_cselect_b64 s[14:15], -1, 0
	s_cmp_lg_u32 s35, 0
	s_cselect_b64 s[10:11], -1, 0
	s_or_b64 s[16:17], s[14:15], s[8:9]
	s_xor_b64 s[6:7], s[16:17], -1
	s_and_b64 s[12:13], s[14:15], exec
	s_cselect_b32 s13, 0, s29
	s_cselect_b32 s12, 0, s28
	s_and_b64 vcc, exec, s[16:17]
	scratch_store_dwordx2 off, v[2:3], off
	s_cbranch_vccnz .LBB40_2
; %bb.1:
	s_load_dword s3, s[26:27], 0x0
	s_mov_b64 s[12:13], s[28:29]
	s_waitcnt lgkmcnt(0)
	v_mov_b32_e32 v23, s3
	s_andn2_b64 vcc, exec, s[6:7]
	v_mov_b64_e32 v[12:13], s[12:13]
	s_cbranch_vccz .LBB40_3
	s_branch .LBB40_4
.LBB40_2:
	v_mov_b32_e32 v1, s26
	v_cndmask_b32_e64 v23, v1, 0, s[14:15]
	s_andn2_b64 vcc, exec, s[6:7]
	v_mov_b64_e32 v[12:13], s[12:13]
	s_cbranch_vccnz .LBB40_4
.LBB40_3:
	v_mov_b64_e32 v[2:3], s[28:29]
	flat_load_dwordx2 v[12:13], v[2:3]
.LBB40_4:
	v_cndmask_b32_e64 v1, 0, 1, s[10:11]
	v_mov_b64_e32 v[28:29], 0
	v_cmp_ne_u32_e64 s[6:7], 1, v1
	s_andn2_b64 vcc, exec, s[10:11]
	v_mov_b64_e32 v[26:27], 0
	s_cbranch_vccnz .LBB40_7
; %bb.5:
	s_xor_b64 s[12:13], s[8:9], -1
	s_mov_b64 s[10:11], src_private_base
	s_and_b64 s[8:9], s[8:9], exec
	s_cselect_b32 s3, s11, s31
	s_cselect_b32 s8, 0, s30
	v_mov_b32_e32 v2, s8
	v_mov_b32_e32 v3, s3
	flat_load_dwordx2 v[26:27], v[2:3]
	s_andn2_b64 vcc, exec, s[12:13]
	v_mov_b64_e32 v[28:29], s[4:5]
	s_cbranch_vccnz .LBB40_7
; %bb.6:
	v_mov_b64_e32 v[2:3], s[30:31]
	flat_load_dwordx2 v[28:29], v[2:3] offset:8
.LBB40_7:
	s_load_dword s3, s[0:1], 0x0
	s_lshl_b32 s2, s2, 3
	v_and_b32_e32 v22, 31, v0
	v_and_b32_e32 v1, 0xe0, v0
	v_mov_b32_e32 v2, 0x400
	v_lshrrev_b32_e32 v0, 5, v0
	s_and_b32 s2, s2, 0x7fffff8
	v_lshl_or_b32 v15, v1, 2, v2
	v_or_b32_e32 v0, s2, v0
	v_lshl_or_b32 v2, v22, 2, v15
	v_mov_b32_e32 v3, -1
	s_waitcnt lgkmcnt(0)
	v_cmp_gt_i32_e32 vcc, s3, v0
	ds_write_b32 v2, v3
	s_waitcnt lgkmcnt(0)
	s_and_saveexec_b64 s[2:3], vcc
	s_cbranch_execz .LBB40_85
; %bb.8:
	s_load_dwordx16 s[8:23], s[0:1], 0x8
	v_lshlrev_b32_e32 v0, 2, v0
	v_lshlrev_b32_e32 v24, 2, v1
	s_waitcnt lgkmcnt(0)
	global_load_dword v10, v0, s[18:19]
	s_waitcnt vmcnt(0)
	v_ashrrev_i32_e32 v11, 31, v10
	v_lshlrev_b64 v[2:3], 2, v[10:11]
	v_lshl_add_u64 v[4:5], s[8:9], 0, v[2:3]
	global_load_dwordx2 v[4:5], v[4:5], off
	v_lshl_add_u64 v[2:3], s[14:15], 0, v[2:3]
	global_load_dword v14, v[2:3], off
	s_waitcnt vmcnt(1)
	v_subrev_u32_e32 v16, s34, v4
	v_subrev_u32_e32 v2, s34, v5
	v_add_u32_e32 v0, v16, v22
	v_cmp_lt_i32_e32 vcc, v0, v2
	s_and_saveexec_b64 s[2:3], vcc
	s_cbranch_execz .LBB40_31
; %bb.9:
	s_mov_b64 s[4:5], 0
	v_mov_b32_e32 v3, -1
	s_branch .LBB40_11
.LBB40_10:                              ;   in Loop: Header=BB40_11 Depth=1
	s_or_b64 exec, exec, s[18:19]
	v_add_u32_e32 v0, 32, v0
	v_cmp_ge_i32_e32 vcc, v0, v2
	s_or_b64 s[4:5], vcc, s[4:5]
	s_andn2_b64 exec, exec, s[4:5]
	s_cbranch_execz .LBB40_31
.LBB40_11:                              ; =>This Loop Header: Depth=1
                                        ;     Child Loop BB40_20 Depth 2
	v_ashrrev_i32_e32 v1, 31, v0
	v_lshl_add_u64 v[4:5], v[0:1], 2, s[10:11]
	global_load_dword v1, v[4:5], off
	v_mov_b32_e32 v4, 32
	s_mov_b64 s[26:27], 0
                                        ; implicit-def: $sgpr18_sgpr19
                                        ; implicit-def: $sgpr28_sgpr29
                                        ; implicit-def: $sgpr30_sgpr31
	s_waitcnt vmcnt(0)
	v_mul_lo_u32 v6, v1, 7
	s_branch .LBB40_20
.LBB40_12:                              ;   in Loop: Header=BB40_20 Depth=2
	s_or_b64 exec, exec, s[54:55]
	s_orn2_b64 s[50:51], s[50:51], exec
	s_orn2_b64 s[52:53], s[52:53], exec
.LBB40_13:                              ;   in Loop: Header=BB40_20 Depth=2
	s_or_b64 exec, exec, s[48:49]
	s_and_b64 s[50:51], s[50:51], exec
	s_orn2_b64 s[48:49], s[52:53], exec
.LBB40_14:                              ;   in Loop: Header=BB40_20 Depth=2
	s_or_b64 exec, exec, s[46:47]
	s_orn2_b64 s[50:51], s[50:51], exec
	s_orn2_b64 s[46:47], s[48:49], exec
.LBB40_15:                              ;   in Loop: Header=BB40_20 Depth=2
	s_or_b64 exec, exec, s[44:45]
	s_and_b64 s[48:49], s[50:51], exec
	s_orn2_b64 s[44:45], s[46:47], exec
.LBB40_16:                              ;   in Loop: Header=BB40_20 Depth=2
	s_or_b64 exec, exec, s[42:43]
	s_orn2_b64 s[42:43], s[48:49], exec
	s_orn2_b64 s[44:45], s[44:45], exec
.LBB40_17:                              ;   in Loop: Header=BB40_20 Depth=2
	s_or_b64 exec, exec, s[40:41]
	s_and_b64 s[42:43], s[42:43], exec
	s_orn2_b64 s[40:41], s[44:45], exec
.LBB40_18:                              ;   in Loop: Header=BB40_20 Depth=2
	s_or_b64 exec, exec, s[38:39]
	s_andn2_b64 s[30:31], s[30:31], exec
	s_and_b64 s[38:39], s[42:43], exec
	s_or_b64 s[30:31], s[30:31], s[38:39]
	s_andn2_b64 s[28:29], s[28:29], exec
	s_and_b64 s[38:39], s[40:41], exec
	s_or_b64 s[28:29], s[28:29], s[38:39]
.LBB40_19:                              ;   in Loop: Header=BB40_20 Depth=2
	s_or_b64 exec, exec, s[36:37]
	s_and_b64 s[36:37], exec, s[28:29]
	s_or_b64 s[26:27], s[36:37], s[26:27]
	s_andn2_b64 s[18:19], s[18:19], exec
	s_and_b64 s[36:37], s[30:31], exec
	s_or_b64 s[18:19], s[18:19], s[36:37]
	s_andn2_b64 exec, exec, s[26:27]
	s_cbranch_execz .LBB40_29
.LBB40_20:                              ;   Parent Loop BB40_11 Depth=1
                                        ; =>  This Inner Loop Header: Depth=2
	v_and_b32_e32 v5, 31, v6
	v_lshl_add_u32 v7, v5, 2, v15
	ds_read_b32 v8, v7
	s_or_b64 s[30:31], s[30:31], exec
	s_or_b64 s[28:29], s[28:29], exec
	s_waitcnt lgkmcnt(0)
	v_cmp_ne_u32_e32 vcc, v8, v1
	s_and_saveexec_b64 s[36:37], vcc
	s_cbranch_execz .LBB40_19
; %bb.21:                               ;   in Loop: Header=BB40_20 Depth=2
	ds_cmpst_rtn_b32 v7, v7, v3, v1
	s_mov_b64 s[40:41], -1
	s_mov_b64 s[42:43], 0
	s_waitcnt lgkmcnt(0)
	v_cmp_ne_u32_e32 vcc, -1, v7
	s_and_saveexec_b64 s[38:39], vcc
	s_cbranch_execz .LBB40_18
; %bb.22:                               ;   in Loop: Header=BB40_20 Depth=2
	v_add_u32_e32 v5, 1, v6
	v_and_b32_e32 v5, 31, v5
	v_lshl_add_u32 v7, v5, 2, v15
	ds_read_b32 v8, v7
	s_mov_b64 s[44:45], -1
	s_mov_b64 s[42:43], -1
	s_waitcnt lgkmcnt(0)
	v_cmp_ne_u32_e32 vcc, v8, v1
	s_and_saveexec_b64 s[40:41], vcc
	s_cbranch_execz .LBB40_17
; %bb.23:                               ;   in Loop: Header=BB40_20 Depth=2
	ds_cmpst_rtn_b32 v7, v7, v3, v1
	s_mov_b64 s[48:49], 0
	s_waitcnt lgkmcnt(0)
	v_cmp_ne_u32_e32 vcc, -1, v7
	s_and_saveexec_b64 s[42:43], vcc
	s_cbranch_execz .LBB40_16
; %bb.24:                               ;   in Loop: Header=BB40_20 Depth=2
	v_add_u32_e32 v5, 2, v6
	v_and_b32_e32 v5, 31, v5
	v_lshl_add_u32 v7, v5, 2, v15
	ds_read_b32 v8, v7
	s_mov_b64 s[46:47], -1
	s_mov_b64 s[50:51], -1
	s_waitcnt lgkmcnt(0)
	v_cmp_ne_u32_e32 vcc, v8, v1
	s_and_saveexec_b64 s[44:45], vcc
	s_cbranch_execz .LBB40_15
; %bb.25:                               ;   in Loop: Header=BB40_20 Depth=2
	ds_cmpst_rtn_b32 v7, v7, v3, v1
	s_mov_b64 s[48:49], -1
	s_mov_b64 s[50:51], 0
	s_waitcnt lgkmcnt(0)
	v_cmp_ne_u32_e32 vcc, -1, v7
	s_and_saveexec_b64 s[46:47], vcc
	s_cbranch_execz .LBB40_14
; %bb.26:                               ;   in Loop: Header=BB40_20 Depth=2
	v_add_u32_e32 v5, 3, v6
	v_and_b32_e32 v5, 31, v5
	v_lshl_add_u32 v7, v5, 2, v15
	ds_read_b32 v6, v7
	s_mov_b64 s[52:53], -1
	s_mov_b64 s[50:51], -1
	s_waitcnt lgkmcnt(0)
	v_cmp_ne_u32_e32 vcc, v6, v1
                                        ; implicit-def: $vgpr6
	s_and_saveexec_b64 s[48:49], vcc
	s_cbranch_execz .LBB40_13
; %bb.27:                               ;   in Loop: Header=BB40_20 Depth=2
	ds_cmpst_rtn_b32 v6, v7, v3, v1
	s_mov_b64 s[50:51], 0
	s_waitcnt lgkmcnt(0)
	v_cmp_ne_u32_e32 vcc, -1, v6
                                        ; implicit-def: $vgpr6
	s_and_saveexec_b64 s[54:55], vcc
	s_cbranch_execz .LBB40_12
; %bb.28:                               ;   in Loop: Header=BB40_20 Depth=2
	v_add_u32_e32 v4, -4, v4
	v_cmp_eq_u32_e32 vcc, 0, v4
	s_mov_b64 s[50:51], exec
	v_add_u32_e32 v6, 1, v5
	s_orn2_b64 s[52:53], vcc, exec
	s_branch .LBB40_12
.LBB40_29:                              ;   in Loop: Header=BB40_11 Depth=1
	s_or_b64 exec, exec, s[26:27]
	s_xor_b64 s[18:19], s[18:19], -1
	s_and_saveexec_b64 s[26:27], s[18:19]
	s_xor_b64 s[18:19], exec, s[26:27]
	s_cbranch_execz .LBB40_10
; %bb.30:                               ;   in Loop: Header=BB40_11 Depth=1
	v_lshl_add_u32 v1, v5, 2, v24
	ds_write_b32 v1, v0
	s_branch .LBB40_10
.LBB40_31:
	s_or_b64 exec, exec, s[2:3]
	s_waitcnt vmcnt(0)
	v_cmp_lt_i32_e32 vcc, v16, v14
	s_waitcnt lgkmcnt(0)
	s_and_saveexec_b64 s[4:5], vcc
	s_cbranch_execz .LBB40_61
; %bb.32:
	v_add_u32_e32 v25, 1, v22
	s_mov_b64 s[18:19], 0
	s_branch .LBB40_35
.LBB40_33:                              ;   in Loop: Header=BB40_35 Depth=1
	s_or_b64 exec, exec, s[26:27]
	v_add_u32_e32 v16, 1, v16
	v_cmp_ge_i32_e32 vcc, v16, v14
	s_orn2_b64 s[26:27], vcc, exec
.LBB40_34:                              ;   in Loop: Header=BB40_35 Depth=1
	s_or_b64 exec, exec, s[2:3]
	s_and_b64 s[2:3], exec, s[26:27]
	s_or_b64 s[18:19], s[2:3], s[18:19]
	s_andn2_b64 exec, exec, s[18:19]
	s_cbranch_execz .LBB40_61
.LBB40_35:                              ; =>This Loop Header: Depth=1
                                        ;     Child Loop BB40_36 Depth 2
                                        ;     Child Loop BB40_41 Depth 2
                                        ;       Child Loop BB40_50 Depth 3
	v_ashrrev_i32_e32 v17, 31, v16
	v_lshl_add_u64 v[0:1], v[16:17], 2, s[10:11]
	global_load_dword v0, v[0:1], off
	v_lshl_add_u64 v[18:19], v[16:17], 4, s[12:13]
	global_load_dwordx4 v[2:5], v[18:19], off
	s_mov_b64 s[2:3], 0
	s_waitcnt vmcnt(1)
	v_subrev_u32_e32 v0, s34, v0
	v_ashrrev_i32_e32 v1, 31, v0
	v_lshlrev_b64 v[0:1], 2, v[0:1]
	v_lshl_add_u64 v[8:9], s[8:9], 0, v[0:1]
	v_lshl_add_u64 v[20:21], s[14:15], 0, v[0:1]
	global_load_dword v7, v[8:9], off offset:4
	global_load_dword v6, v[20:21], off
	v_lshl_add_u64 v[0:1], s[16:17], 0, v[0:1]
.LBB40_36:                              ;   Parent Loop BB40_35 Depth=1
                                        ; =>  This Inner Loop Header: Depth=2
	global_load_dword v8, v[0:1], off sc1
	s_waitcnt vmcnt(0)
	v_cmp_ne_u32_e32 vcc, 0, v8
	s_or_b64 s[2:3], vcc, s[2:3]
	s_andn2_b64 exec, exec, s[2:3]
	s_cbranch_execnz .LBB40_36
; %bb.37:                               ;   in Loop: Header=BB40_35 Depth=1
	s_or_b64 exec, exec, s[2:3]
	v_subrev_u32_e32 v17, s34, v7
	v_add_u32_e32 v0, -1, v17
	v_cmp_eq_u32_e32 vcc, -1, v6
	buffer_inv sc1
	s_mov_b64 s[26:27], -1
	v_cndmask_b32_e32 v20, v6, v0, vcc
	v_ashrrev_i32_e32 v21, 31, v20
	v_lshl_add_u64 v[0:1], v[20:21], 4, s[12:13]
	global_load_dwordx4 v[6:9], v[0:1], off
	s_waitcnt vmcnt(0)
	v_cmp_neq_f64_e32 vcc, 0, v[6:7]
	v_cmp_neq_f64_e64 s[2:3], 0, v[8:9]
	s_or_b64 s[28:29], vcc, s[2:3]
	s_and_saveexec_b64 s[2:3], s[28:29]
	s_cbranch_execz .LBB40_34
; %bb.38:                               ;   in Loop: Header=BB40_35 Depth=1
	v_mul_f64 v[0:1], v[8:9], v[8:9]
	v_fmac_f64_e32 v[0:1], v[6:7], v[6:7]
	v_div_scale_f64 v[30:31], s[26:27], v[0:1], v[0:1], 1.0
	v_rcp_f64_e32 v[32:33], v[30:31]
	v_div_scale_f64 v[34:35], vcc, 1.0, v[0:1], 1.0
	v_fma_f64 v[36:37], -v[30:31], v[32:33], 1.0
	v_fmac_f64_e32 v[32:33], v[32:33], v[36:37]
	v_fma_f64 v[36:37], -v[30:31], v[32:33], 1.0
	v_fmac_f64_e32 v[32:33], v[32:33], v[36:37]
	v_mul_f64 v[36:37], v[34:35], v[32:33]
	v_fma_f64 v[30:31], -v[30:31], v[36:37], v[34:35]
	v_div_fmas_f64 v[30:31], v[30:31], v[32:33], v[36:37]
	v_div_fixup_f64 v[30:31], v[30:31], v[0:1], 1.0
	v_mul_f64 v[0:1], v[4:5], v[8:9]
	v_fmac_f64_e32 v[0:1], v[2:3], v[6:7]
	v_mul_f64 v[2:3], v[8:9], -v[2:3]
	v_fmac_f64_e32 v[2:3], v[4:5], v[6:7]
	v_add_u32_e32 v4, v25, v20
	v_mul_f64 v[0:1], v[0:1], v[30:31]
	v_mul_f64 v[2:3], v[2:3], v[30:31]
	v_cmp_lt_i32_e32 vcc, v4, v17
	global_store_dwordx4 v[18:19], v[0:3], off
	s_and_saveexec_b64 s[26:27], vcc
	s_cbranch_execz .LBB40_33
; %bb.39:                               ;   in Loop: Header=BB40_35 Depth=1
	s_mov_b64 s[28:29], 0
	s_branch .LBB40_41
.LBB40_40:                              ;   in Loop: Header=BB40_41 Depth=2
	s_or_b64 exec, exec, s[30:31]
	v_add_u32_e32 v4, 32, v4
	v_cmp_ge_i32_e32 vcc, v4, v17
	s_or_b64 s[28:29], vcc, s[28:29]
	s_andn2_b64 exec, exec, s[28:29]
	s_cbranch_execz .LBB40_33
.LBB40_41:                              ;   Parent Loop BB40_35 Depth=1
                                        ; =>  This Loop Header: Depth=2
                                        ;       Child Loop BB40_50 Depth 3
	v_ashrrev_i32_e32 v5, 31, v4
	v_lshl_add_u64 v[6:7], v[4:5], 2, s[10:11]
	global_load_dword v6, v[6:7], off
	v_mov_b32_e32 v7, 32
	s_mov_b64 s[36:37], 0
                                        ; implicit-def: $sgpr30_sgpr31
                                        ; implicit-def: $sgpr38_sgpr39
                                        ; implicit-def: $sgpr40_sgpr41
	s_waitcnt vmcnt(0)
	v_mul_lo_u32 v9, v6, 7
	s_branch .LBB40_50
.LBB40_42:                              ;   in Loop: Header=BB40_50 Depth=3
	s_or_b64 exec, exec, s[60:61]
	s_orn2_b64 s[56:57], s[56:57], exec
	s_orn2_b64 s[58:59], s[58:59], exec
.LBB40_43:                              ;   in Loop: Header=BB40_50 Depth=3
	s_or_b64 exec, exec, s[54:55]
	s_and_b64 s[56:57], s[56:57], exec
	s_orn2_b64 s[54:55], s[58:59], exec
.LBB40_44:                              ;   in Loop: Header=BB40_50 Depth=3
	s_or_b64 exec, exec, s[52:53]
	s_orn2_b64 s[56:57], s[56:57], exec
	s_orn2_b64 s[52:53], s[54:55], exec
.LBB40_45:                              ;   in Loop: Header=BB40_50 Depth=3
	s_or_b64 exec, exec, s[50:51]
	s_and_b64 s[54:55], s[56:57], exec
	s_orn2_b64 s[50:51], s[52:53], exec
.LBB40_46:                              ;   in Loop: Header=BB40_50 Depth=3
	s_or_b64 exec, exec, s[48:49]
	s_orn2_b64 s[48:49], s[54:55], exec
	s_orn2_b64 s[50:51], s[50:51], exec
.LBB40_47:                              ;   in Loop: Header=BB40_50 Depth=3
	s_or_b64 exec, exec, s[46:47]
	s_and_b64 s[48:49], s[48:49], exec
	s_orn2_b64 s[46:47], s[50:51], exec
.LBB40_48:                              ;   in Loop: Header=BB40_50 Depth=3
	s_or_b64 exec, exec, s[44:45]
	s_andn2_b64 s[40:41], s[40:41], exec
	s_and_b64 s[44:45], s[48:49], exec
	s_or_b64 s[40:41], s[40:41], s[44:45]
	s_andn2_b64 s[38:39], s[38:39], exec
	s_and_b64 s[44:45], s[46:47], exec
	s_or_b64 s[38:39], s[38:39], s[44:45]
.LBB40_49:                              ;   in Loop: Header=BB40_50 Depth=3
	s_or_b64 exec, exec, s[42:43]
	s_and_b64 s[42:43], exec, s[38:39]
	s_or_b64 s[36:37], s[42:43], s[36:37]
	s_andn2_b64 s[30:31], s[30:31], exec
	s_and_b64 s[42:43], s[40:41], exec
	s_or_b64 s[30:31], s[30:31], s[42:43]
	s_andn2_b64 exec, exec, s[36:37]
	s_cbranch_execz .LBB40_59
.LBB40_50:                              ;   Parent Loop BB40_35 Depth=1
                                        ;     Parent Loop BB40_41 Depth=2
                                        ; =>    This Inner Loop Header: Depth=3
	v_and_b32_e32 v8, 31, v9
	v_lshl_add_u32 v18, v8, 2, v15
	ds_read_b32 v18, v18
	s_or_b64 s[40:41], s[40:41], exec
	s_or_b64 s[38:39], s[38:39], exec
	s_waitcnt lgkmcnt(0)
	v_cmp_ne_u32_e32 vcc, -1, v18
	s_and_saveexec_b64 s[42:43], vcc
	s_cbranch_execz .LBB40_49
; %bb.51:                               ;   in Loop: Header=BB40_50 Depth=3
	v_cmp_ne_u32_e32 vcc, v18, v6
	s_mov_b64 s[46:47], -1
	s_mov_b64 s[48:49], 0
	s_and_saveexec_b64 s[44:45], vcc
	s_cbranch_execz .LBB40_48
; %bb.52:                               ;   in Loop: Header=BB40_50 Depth=3
	v_add_u32_e32 v8, 1, v9
	v_and_b32_e32 v8, 31, v8
	v_lshl_add_u32 v18, v8, 2, v15
	ds_read_b32 v18, v18
	s_mov_b64 s[50:51], -1
	s_mov_b64 s[48:49], -1
	s_waitcnt lgkmcnt(0)
	v_cmp_ne_u32_e32 vcc, -1, v18
	s_and_saveexec_b64 s[46:47], vcc
	s_cbranch_execz .LBB40_47
; %bb.53:                               ;   in Loop: Header=BB40_50 Depth=3
	v_cmp_ne_u32_e32 vcc, v18, v6
	s_mov_b64 s[54:55], 0
	s_and_saveexec_b64 s[48:49], vcc
	s_cbranch_execz .LBB40_46
; %bb.54:                               ;   in Loop: Header=BB40_50 Depth=3
	v_add_u32_e32 v8, 2, v9
	v_and_b32_e32 v8, 31, v8
	v_lshl_add_u32 v18, v8, 2, v15
	ds_read_b32 v18, v18
	s_mov_b64 s[52:53], -1
	s_mov_b64 s[56:57], -1
	s_waitcnt lgkmcnt(0)
	v_cmp_ne_u32_e32 vcc, -1, v18
	s_and_saveexec_b64 s[50:51], vcc
	s_cbranch_execz .LBB40_45
; %bb.55:                               ;   in Loop: Header=BB40_50 Depth=3
	v_cmp_ne_u32_e32 vcc, v18, v6
	s_mov_b64 s[54:55], -1
	s_mov_b64 s[56:57], 0
	s_and_saveexec_b64 s[52:53], vcc
	s_cbranch_execz .LBB40_44
; %bb.56:                               ;   in Loop: Header=BB40_50 Depth=3
	v_add_u32_e32 v8, 3, v9
	v_and_b32_e32 v8, 31, v8
	v_lshl_add_u32 v9, v8, 2, v15
	ds_read_b32 v18, v9
	s_mov_b64 s[58:59], -1
	s_mov_b64 s[56:57], -1
                                        ; implicit-def: $vgpr9
	s_waitcnt lgkmcnt(0)
	v_cmp_ne_u32_e32 vcc, -1, v18
	s_and_saveexec_b64 s[54:55], vcc
	s_cbranch_execz .LBB40_43
; %bb.57:                               ;   in Loop: Header=BB40_50 Depth=3
	v_cmp_ne_u32_e32 vcc, v18, v6
	s_mov_b64 s[56:57], 0
                                        ; implicit-def: $vgpr9
	s_and_saveexec_b64 s[60:61], vcc
	s_cbranch_execz .LBB40_42
; %bb.58:                               ;   in Loop: Header=BB40_50 Depth=3
	v_add_u32_e32 v7, -4, v7
	v_cmp_eq_u32_e32 vcc, 0, v7
	s_mov_b64 s[56:57], exec
	v_add_u32_e32 v9, 1, v8
	s_orn2_b64 s[58:59], vcc, exec
	s_branch .LBB40_42
.LBB40_59:                              ;   in Loop: Header=BB40_41 Depth=2
	s_or_b64 exec, exec, s[36:37]
	s_xor_b64 s[30:31], s[30:31], -1
	s_and_saveexec_b64 s[36:37], s[30:31]
	s_xor_b64 s[30:31], exec, s[36:37]
	s_cbranch_execz .LBB40_40
; %bb.60:                               ;   in Loop: Header=BB40_41 Depth=2
	v_lshl_add_u32 v6, v8, 2, v24
	ds_read_b32 v6, v6
	v_lshl_add_u64 v[30:31], v[4:5], 4, s[12:13]
	s_waitcnt lgkmcnt(0)
	v_ashrrev_i32_e32 v7, 31, v6
	v_lshl_add_u64 v[32:33], v[6:7], 4, s[12:13]
	global_load_dwordx4 v[6:9], v[30:31], off
	global_load_dwordx4 v[18:21], v[32:33], off
	s_waitcnt vmcnt(0)
	v_fma_f64 v[18:19], -v[0:1], v[6:7], v[18:19]
	v_fma_f64 v[6:7], -v[2:3], v[6:7], v[20:21]
	v_fmac_f64_e32 v[18:19], v[2:3], v[8:9]
	v_fma_f64 v[20:21], -v[0:1], v[8:9], v[6:7]
	global_store_dwordx4 v[32:33], v[18:21], off
	s_branch .LBB40_40
.LBB40_61:
	s_or_b64 exec, exec, s[4:5]
	v_cmp_lt_i32_e32 vcc, -1, v14
	s_and_saveexec_b64 s[2:3], vcc
	s_cbranch_execz .LBB40_83
; %bb.62:
	v_mov_b32_e32 v15, 0
	v_lshl_add_u64 v[4:5], v[14:15], 4, s[12:13]
	global_load_dwordx4 v[0:3], v[4:5], off
                                        ; implicit-def: $vgpr14_vgpr15
	s_waitcnt vmcnt(0)
	v_xor_b32_e32 v7, 0x80000000, v1
	v_cmp_gt_f64_e32 vcc, 0, v[0:1]
	v_xor_b32_e32 v8, 0x80000000, v3
	v_mov_b32_e32 v6, v0
	v_cndmask_b32_e32 v7, v1, v7, vcc
	v_cmp_gt_f64_e32 vcc, 0, v[2:3]
	s_nop 1
	v_cndmask_b32_e32 v9, v3, v8, vcc
	v_mov_b32_e32 v8, v2
	v_cmp_ngt_f64_e32 vcc, v[6:7], v[8:9]
	s_and_saveexec_b64 s[4:5], vcc
	s_xor_b64 s[4:5], exec, s[4:5]
	s_cbranch_execz .LBB40_66
; %bb.63:
	v_mov_b64_e32 v[14:15], 0
	v_cmp_neq_f64_e32 vcc, 0, v[2:3]
	s_and_saveexec_b64 s[8:9], vcc
	s_cbranch_execz .LBB40_65
; %bb.64:
	v_div_scale_f64 v[14:15], s[10:11], v[8:9], v[8:9], v[6:7]
	v_rcp_f64_e32 v[16:17], v[14:15]
	v_div_scale_f64 v[18:19], vcc, v[6:7], v[8:9], v[6:7]
	s_mov_b32 s10, 0
	v_fma_f64 v[20:21], -v[14:15], v[16:17], 1.0
	v_fmac_f64_e32 v[16:17], v[16:17], v[20:21]
	v_fma_f64 v[20:21], -v[14:15], v[16:17], 1.0
	v_fmac_f64_e32 v[16:17], v[16:17], v[20:21]
	v_mul_f64 v[20:21], v[18:19], v[16:17]
	v_fma_f64 v[14:15], -v[14:15], v[20:21], v[18:19]
	v_div_fmas_f64 v[14:15], v[14:15], v[16:17], v[20:21]
	v_div_fixup_f64 v[6:7], v[14:15], v[8:9], v[6:7]
	v_fma_f64 v[6:7], v[6:7], v[6:7], 1.0
	s_brev_b32 s11, 8
	v_mov_b32_e32 v14, 0x100
	v_cmp_gt_f64_e32 vcc, s[10:11], v[6:7]
	s_nop 1
	v_cndmask_b32_e32 v14, 0, v14, vcc
	v_ldexp_f64 v[6:7], v[6:7], v14
	v_rsq_f64_e32 v[14:15], v[6:7]
	s_nop 0
	v_mul_f64 v[16:17], v[6:7], v[14:15]
	v_mul_f64 v[14:15], v[14:15], 0.5
	v_fma_f64 v[18:19], -v[14:15], v[16:17], 0.5
	v_fmac_f64_e32 v[16:17], v[16:17], v[18:19]
	v_fma_f64 v[20:21], -v[16:17], v[16:17], v[6:7]
	v_fmac_f64_e32 v[14:15], v[14:15], v[18:19]
	v_fmac_f64_e32 v[16:17], v[20:21], v[14:15]
	v_fma_f64 v[18:19], -v[16:17], v[16:17], v[6:7]
	v_fmac_f64_e32 v[16:17], v[18:19], v[14:15]
	v_mov_b32_e32 v14, 0xffffff80
	v_cndmask_b32_e32 v14, 0, v14, vcc
	v_ldexp_f64 v[14:15], v[16:17], v14
	v_mov_b32_e32 v16, 0x260
	v_cmp_class_f64_e32 vcc, v[6:7], v16
	s_nop 1
	v_cndmask_b32_e32 v7, v15, v7, vcc
	v_cndmask_b32_e32 v6, v14, v6, vcc
	v_mul_f64 v[14:15], v[8:9], v[6:7]
.LBB40_65:
	s_or_b64 exec, exec, s[8:9]
                                        ; implicit-def: $vgpr6_vgpr7
                                        ; implicit-def: $vgpr8_vgpr9
.LBB40_66:
	s_andn2_saveexec_b64 s[4:5], s[4:5]
	s_cbranch_execz .LBB40_68
; %bb.67:
	v_div_scale_f64 v[14:15], s[8:9], v[6:7], v[6:7], v[8:9]
	v_rcp_f64_e32 v[16:17], v[14:15]
	v_div_scale_f64 v[18:19], vcc, v[8:9], v[6:7], v[8:9]
	s_mov_b32 s8, 0
	v_fma_f64 v[20:21], -v[14:15], v[16:17], 1.0
	v_fmac_f64_e32 v[16:17], v[16:17], v[20:21]
	v_fma_f64 v[20:21], -v[14:15], v[16:17], 1.0
	v_fmac_f64_e32 v[16:17], v[16:17], v[20:21]
	v_mul_f64 v[20:21], v[18:19], v[16:17]
	v_fma_f64 v[14:15], -v[14:15], v[20:21], v[18:19]
	v_div_fmas_f64 v[14:15], v[14:15], v[16:17], v[20:21]
	v_div_fixup_f64 v[8:9], v[14:15], v[6:7], v[8:9]
	v_fma_f64 v[8:9], v[8:9], v[8:9], 1.0
	s_brev_b32 s9, 8
	v_mov_b32_e32 v14, 0x100
	v_cmp_gt_f64_e32 vcc, s[8:9], v[8:9]
	s_nop 1
	v_cndmask_b32_e32 v14, 0, v14, vcc
	v_ldexp_f64 v[8:9], v[8:9], v14
	v_rsq_f64_e32 v[14:15], v[8:9]
	s_nop 0
	v_mul_f64 v[16:17], v[8:9], v[14:15]
	v_mul_f64 v[14:15], v[14:15], 0.5
	v_fma_f64 v[18:19], -v[14:15], v[16:17], 0.5
	v_fmac_f64_e32 v[16:17], v[16:17], v[18:19]
	v_fma_f64 v[20:21], -v[16:17], v[16:17], v[8:9]
	v_fmac_f64_e32 v[14:15], v[14:15], v[18:19]
	v_fmac_f64_e32 v[16:17], v[20:21], v[14:15]
	v_fma_f64 v[18:19], -v[16:17], v[16:17], v[8:9]
	v_fmac_f64_e32 v[16:17], v[18:19], v[14:15]
	v_mov_b32_e32 v14, 0xffffff80
	v_cndmask_b32_e32 v14, 0, v14, vcc
	v_ldexp_f64 v[14:15], v[16:17], v14
	v_mov_b32_e32 v16, 0x260
	v_cmp_class_f64_e32 vcc, v[8:9], v16
	s_nop 1
	v_cndmask_b32_e32 v9, v15, v9, vcc
	v_cndmask_b32_e32 v8, v14, v8, vcc
	v_mul_f64 v[14:15], v[6:7], v[8:9]
.LBB40_68:
	s_or_b64 exec, exec, s[4:5]
	v_cmp_eq_u32_e64 s[4:5], 0, v22
	s_and_b64 vcc, exec, s[6:7]
	s_mov_b64 s[6:7], -1
	s_cbranch_vccnz .LBB40_72
; %bb.69:
	s_cmp_eq_u64 s[24:25], 8
	v_cvt_f64_f32_e32 v[6:7], v23
	s_cselect_b64 vcc, -1, 0
	v_cndmask_b32_e32 v7, v7, v13, vcc
	v_cndmask_b32_e32 v6, v6, v12, vcc
	v_cmp_le_f64_e32 vcc, v[14:15], v[6:7]
	s_and_b64 s[8:9], s[4:5], vcc
	s_and_saveexec_b64 s[6:7], s[8:9]
	s_cbranch_execz .LBB40_71
; %bb.70:
	global_store_dwordx4 v[4:5], v[26:29], off
	buffer_wbl2 sc1
	s_waitcnt vmcnt(0)
	buffer_inv sc1
.LBB40_71:
	s_or_b64 exec, exec, s[6:7]
	s_mov_b64 s[6:7], 0
.LBB40_72:
	s_andn2_b64 vcc, exec, s[6:7]
	s_cbranch_vccnz .LBB40_83
; %bb.73:
	s_load_dwordx2 s[0:1], s[0:1], 0x48
	v_add_u32_e32 v4, s34, v10
	s_waitcnt lgkmcnt(0)
	v_cmp_ge_f64_e32 vcc, s[0:1], v[14:15]
	s_and_b64 s[6:7], s[4:5], vcc
	s_and_saveexec_b64 s[0:1], s[6:7]
	s_cbranch_execz .LBB40_78
; %bb.74:
	s_mov_b64 s[6:7], exec
	s_brev_b32 s8, -2
.LBB40_75:                              ; =>This Inner Loop Header: Depth=1
	s_ff1_i32_b64 s9, s[6:7]
	v_readlane_b32 s12, v4, s9
	s_lshl_b64 s[10:11], 1, s9
	s_min_i32 s8, s8, s12
	s_andn2_b64 s[6:7], s[6:7], s[10:11]
	s_cmp_lg_u64 s[6:7], 0
	s_cbranch_scc1 .LBB40_75
; %bb.76:
	v_mbcnt_lo_u32_b32 v5, exec_lo, 0
	v_mbcnt_hi_u32_b32 v5, exec_hi, v5
	v_cmp_eq_u32_e32 vcc, 0, v5
	s_and_saveexec_b64 s[6:7], vcc
	s_xor_b64 s[6:7], exec, s[6:7]
	s_cbranch_execz .LBB40_78
; %bb.77:
	v_mov_b32_e32 v5, 0
	v_mov_b32_e32 v6, s8
	global_atomic_smin v5, v6, s[22:23]
.LBB40_78:
	s_or_b64 exec, exec, s[0:1]
	v_cmp_eq_f64_e32 vcc, 0, v[0:1]
	v_cmp_eq_f64_e64 s[0:1], 0, v[2:3]
	s_and_b64 s[0:1], vcc, s[0:1]
	s_and_b64 s[0:1], s[4:5], s[0:1]
	s_and_b64 exec, exec, s[0:1]
	s_cbranch_execz .LBB40_83
; %bb.79:
	s_mov_b64 s[0:1], exec
	s_brev_b32 s4, -2
.LBB40_80:                              ; =>This Inner Loop Header: Depth=1
	s_ff1_i32_b64 s5, s[0:1]
	v_readlane_b32 s8, v4, s5
	s_lshl_b64 s[6:7], 1, s5
	s_min_i32 s4, s4, s8
	s_andn2_b64 s[0:1], s[0:1], s[6:7]
	s_cmp_lg_u64 s[0:1], 0
	s_cbranch_scc1 .LBB40_80
; %bb.81:
	v_mbcnt_lo_u32_b32 v0, exec_lo, 0
	v_mbcnt_hi_u32_b32 v0, exec_hi, v0
	v_cmp_eq_u32_e32 vcc, 0, v0
	s_and_saveexec_b64 s[0:1], vcc
	s_xor_b64 s[0:1], exec, s[0:1]
	s_cbranch_execz .LBB40_83
; %bb.82:
	v_mov_b32_e32 v0, 0
	v_mov_b32_e32 v1, s4
	global_atomic_smin v0, v1, s[20:21]
.LBB40_83:
	s_or_b64 exec, exec, s[2:3]
	v_cmp_eq_u32_e32 vcc, 0, v22
	buffer_wbl2 sc1
	s_waitcnt vmcnt(0)
	buffer_inv sc1
	s_and_b64 exec, exec, vcc
	s_cbranch_execz .LBB40_85
; %bb.84:
	v_lshl_add_u64 v[0:1], v[10:11], 2, s[16:17]
	v_mov_b32_e32 v2, 1
	buffer_wbl2 sc1
	global_store_dword v[0:1], v2, off sc1
.LBB40_85:
	s_endpgm
	.section	.rodata,"a",@progbits
	.p2align	6, 0x0
	.amdhsa_kernel _ZN9rocsparseL12csrilu0_hashILj256ELj32ELj1E21rocsparse_complex_numIdEEEviPKiS4_PT2_S4_PiS4_S7_S7_d21rocsparse_index_base_imNS_24const_host_device_scalarIfEENS9_IdEENS9_IS5_EEb
		.amdhsa_group_segment_fixed_size 2048
		.amdhsa_private_segment_fixed_size 16
		.amdhsa_kernarg_size 132
		.amdhsa_user_sgpr_count 2
		.amdhsa_user_sgpr_dispatch_ptr 0
		.amdhsa_user_sgpr_queue_ptr 0
		.amdhsa_user_sgpr_kernarg_segment_ptr 1
		.amdhsa_user_sgpr_dispatch_id 0
		.amdhsa_user_sgpr_kernarg_preload_length 0
		.amdhsa_user_sgpr_kernarg_preload_offset 0
		.amdhsa_user_sgpr_private_segment_size 0
		.amdhsa_uses_dynamic_stack 0
		.amdhsa_enable_private_segment 1
		.amdhsa_system_sgpr_workgroup_id_x 1
		.amdhsa_system_sgpr_workgroup_id_y 0
		.amdhsa_system_sgpr_workgroup_id_z 0
		.amdhsa_system_sgpr_workgroup_info 0
		.amdhsa_system_vgpr_workitem_id 0
		.amdhsa_next_free_vgpr 38
		.amdhsa_next_free_sgpr 62
		.amdhsa_accum_offset 40
		.amdhsa_reserve_vcc 1
		.amdhsa_float_round_mode_32 0
		.amdhsa_float_round_mode_16_64 0
		.amdhsa_float_denorm_mode_32 3
		.amdhsa_float_denorm_mode_16_64 3
		.amdhsa_dx10_clamp 1
		.amdhsa_ieee_mode 1
		.amdhsa_fp16_overflow 0
		.amdhsa_tg_split 0
		.amdhsa_exception_fp_ieee_invalid_op 0
		.amdhsa_exception_fp_denorm_src 0
		.amdhsa_exception_fp_ieee_div_zero 0
		.amdhsa_exception_fp_ieee_overflow 0
		.amdhsa_exception_fp_ieee_underflow 0
		.amdhsa_exception_fp_ieee_inexact 0
		.amdhsa_exception_int_div_zero 0
	.end_amdhsa_kernel
	.section	.text._ZN9rocsparseL12csrilu0_hashILj256ELj32ELj1E21rocsparse_complex_numIdEEEviPKiS4_PT2_S4_PiS4_S7_S7_d21rocsparse_index_base_imNS_24const_host_device_scalarIfEENS9_IdEENS9_IS5_EEb,"axG",@progbits,_ZN9rocsparseL12csrilu0_hashILj256ELj32ELj1E21rocsparse_complex_numIdEEEviPKiS4_PT2_S4_PiS4_S7_S7_d21rocsparse_index_base_imNS_24const_host_device_scalarIfEENS9_IdEENS9_IS5_EEb,comdat
.Lfunc_end40:
	.size	_ZN9rocsparseL12csrilu0_hashILj256ELj32ELj1E21rocsparse_complex_numIdEEEviPKiS4_PT2_S4_PiS4_S7_S7_d21rocsparse_index_base_imNS_24const_host_device_scalarIfEENS9_IdEENS9_IS5_EEb, .Lfunc_end40-_ZN9rocsparseL12csrilu0_hashILj256ELj32ELj1E21rocsparse_complex_numIdEEEviPKiS4_PT2_S4_PiS4_S7_S7_d21rocsparse_index_base_imNS_24const_host_device_scalarIfEENS9_IdEENS9_IS5_EEb
                                        ; -- End function
	.set _ZN9rocsparseL12csrilu0_hashILj256ELj32ELj1E21rocsparse_complex_numIdEEEviPKiS4_PT2_S4_PiS4_S7_S7_d21rocsparse_index_base_imNS_24const_host_device_scalarIfEENS9_IdEENS9_IS5_EEb.num_vgpr, 38
	.set _ZN9rocsparseL12csrilu0_hashILj256ELj32ELj1E21rocsparse_complex_numIdEEEviPKiS4_PT2_S4_PiS4_S7_S7_d21rocsparse_index_base_imNS_24const_host_device_scalarIfEENS9_IdEENS9_IS5_EEb.num_agpr, 0
	.set _ZN9rocsparseL12csrilu0_hashILj256ELj32ELj1E21rocsparse_complex_numIdEEEviPKiS4_PT2_S4_PiS4_S7_S7_d21rocsparse_index_base_imNS_24const_host_device_scalarIfEENS9_IdEENS9_IS5_EEb.numbered_sgpr, 62
	.set _ZN9rocsparseL12csrilu0_hashILj256ELj32ELj1E21rocsparse_complex_numIdEEEviPKiS4_PT2_S4_PiS4_S7_S7_d21rocsparse_index_base_imNS_24const_host_device_scalarIfEENS9_IdEENS9_IS5_EEb.num_named_barrier, 0
	.set _ZN9rocsparseL12csrilu0_hashILj256ELj32ELj1E21rocsparse_complex_numIdEEEviPKiS4_PT2_S4_PiS4_S7_S7_d21rocsparse_index_base_imNS_24const_host_device_scalarIfEENS9_IdEENS9_IS5_EEb.private_seg_size, 16
	.set _ZN9rocsparseL12csrilu0_hashILj256ELj32ELj1E21rocsparse_complex_numIdEEEviPKiS4_PT2_S4_PiS4_S7_S7_d21rocsparse_index_base_imNS_24const_host_device_scalarIfEENS9_IdEENS9_IS5_EEb.uses_vcc, 1
	.set _ZN9rocsparseL12csrilu0_hashILj256ELj32ELj1E21rocsparse_complex_numIdEEEviPKiS4_PT2_S4_PiS4_S7_S7_d21rocsparse_index_base_imNS_24const_host_device_scalarIfEENS9_IdEENS9_IS5_EEb.uses_flat_scratch, 0
	.set _ZN9rocsparseL12csrilu0_hashILj256ELj32ELj1E21rocsparse_complex_numIdEEEviPKiS4_PT2_S4_PiS4_S7_S7_d21rocsparse_index_base_imNS_24const_host_device_scalarIfEENS9_IdEENS9_IS5_EEb.has_dyn_sized_stack, 0
	.set _ZN9rocsparseL12csrilu0_hashILj256ELj32ELj1E21rocsparse_complex_numIdEEEviPKiS4_PT2_S4_PiS4_S7_S7_d21rocsparse_index_base_imNS_24const_host_device_scalarIfEENS9_IdEENS9_IS5_EEb.has_recursion, 0
	.set _ZN9rocsparseL12csrilu0_hashILj256ELj32ELj1E21rocsparse_complex_numIdEEEviPKiS4_PT2_S4_PiS4_S7_S7_d21rocsparse_index_base_imNS_24const_host_device_scalarIfEENS9_IdEENS9_IS5_EEb.has_indirect_call, 0
	.section	.AMDGPU.csdata,"",@progbits
; Kernel info:
; codeLenInByte = 3104
; TotalNumSgprs: 68
; NumVgprs: 38
; NumAgprs: 0
; TotalNumVgprs: 38
; ScratchSize: 16
; MemoryBound: 0
; FloatMode: 240
; IeeeMode: 1
; LDSByteSize: 2048 bytes/workgroup (compile time only)
; SGPRBlocks: 8
; VGPRBlocks: 4
; NumSGPRsForWavesPerEU: 68
; NumVGPRsForWavesPerEU: 38
; AccumOffset: 40
; Occupancy: 8
; WaveLimiterHint : 1
; COMPUTE_PGM_RSRC2:SCRATCH_EN: 1
; COMPUTE_PGM_RSRC2:USER_SGPR: 2
; COMPUTE_PGM_RSRC2:TRAP_HANDLER: 0
; COMPUTE_PGM_RSRC2:TGID_X_EN: 1
; COMPUTE_PGM_RSRC2:TGID_Y_EN: 0
; COMPUTE_PGM_RSRC2:TGID_Z_EN: 0
; COMPUTE_PGM_RSRC2:TIDIG_COMP_CNT: 0
; COMPUTE_PGM_RSRC3_GFX90A:ACCUM_OFFSET: 9
; COMPUTE_PGM_RSRC3_GFX90A:TG_SPLIT: 0
	.section	.text._ZN9rocsparseL12csrilu0_hashILj256ELj32ELj2E21rocsparse_complex_numIdEEEviPKiS4_PT2_S4_PiS4_S7_S7_d21rocsparse_index_base_imNS_24const_host_device_scalarIfEENS9_IdEENS9_IS5_EEb,"axG",@progbits,_ZN9rocsparseL12csrilu0_hashILj256ELj32ELj2E21rocsparse_complex_numIdEEEviPKiS4_PT2_S4_PiS4_S7_S7_d21rocsparse_index_base_imNS_24const_host_device_scalarIfEENS9_IdEENS9_IS5_EEb,comdat
	.globl	_ZN9rocsparseL12csrilu0_hashILj256ELj32ELj2E21rocsparse_complex_numIdEEEviPKiS4_PT2_S4_PiS4_S7_S7_d21rocsparse_index_base_imNS_24const_host_device_scalarIfEENS9_IdEENS9_IS5_EEb ; -- Begin function _ZN9rocsparseL12csrilu0_hashILj256ELj32ELj2E21rocsparse_complex_numIdEEEviPKiS4_PT2_S4_PiS4_S7_S7_d21rocsparse_index_base_imNS_24const_host_device_scalarIfEENS9_IdEENS9_IS5_EEb
	.p2align	8
	.type	_ZN9rocsparseL12csrilu0_hashILj256ELj32ELj2E21rocsparse_complex_numIdEEEviPKiS4_PT2_S4_PiS4_S7_S7_d21rocsparse_index_base_imNS_24const_host_device_scalarIfEENS9_IdEENS9_IS5_EEb,@function
_ZN9rocsparseL12csrilu0_hashILj256ELj32ELj2E21rocsparse_complex_numIdEEEviPKiS4_PT2_S4_PiS4_S7_S7_d21rocsparse_index_base_imNS_24const_host_device_scalarIfEENS9_IdEENS9_IS5_EEb: ; @_ZN9rocsparseL12csrilu0_hashILj256ELj32ELj2E21rocsparse_complex_numIdEEEviPKiS4_PT2_S4_PiS4_S7_S7_d21rocsparse_index_base_imNS_24const_host_device_scalarIfEENS9_IdEENS9_IS5_EEb
; %bb.0:
	s_load_dword s3, s[0:1], 0x80
	s_load_dwordx8 s[24:31], s[0:1], 0x58
	s_load_dwordx2 s[4:5], s[0:1], 0x78
	s_load_dwordx2 s[34:35], s[0:1], 0x50
	s_waitcnt lgkmcnt(0)
	s_bitcmp1_b32 s3, 0
	s_cselect_b64 s[8:9], -1, 0
	v_mov_b64_e32 v[2:3], s[30:31]
	s_cmp_eq_u32 s35, 0
	s_cselect_b64 s[14:15], -1, 0
	s_cmp_lg_u32 s35, 0
	s_cselect_b64 s[10:11], -1, 0
	s_or_b64 s[16:17], s[14:15], s[8:9]
	s_xor_b64 s[6:7], s[16:17], -1
	s_and_b64 s[12:13], s[14:15], exec
	s_cselect_b32 s13, 0, s29
	s_cselect_b32 s12, 0, s28
	s_and_b64 vcc, exec, s[16:17]
	scratch_store_dwordx2 off, v[2:3], off
	s_cbranch_vccnz .LBB41_2
; %bb.1:
	s_load_dword s3, s[26:27], 0x0
	s_mov_b64 s[12:13], s[28:29]
	s_waitcnt lgkmcnt(0)
	v_mov_b32_e32 v23, s3
	s_andn2_b64 vcc, exec, s[6:7]
	v_mov_b64_e32 v[12:13], s[12:13]
	s_cbranch_vccz .LBB41_3
	s_branch .LBB41_4
.LBB41_2:
	v_mov_b32_e32 v1, s26
	v_cndmask_b32_e64 v23, v1, 0, s[14:15]
	s_andn2_b64 vcc, exec, s[6:7]
	v_mov_b64_e32 v[12:13], s[12:13]
	s_cbranch_vccnz .LBB41_4
.LBB41_3:
	v_mov_b64_e32 v[2:3], s[28:29]
	flat_load_dwordx2 v[12:13], v[2:3]
.LBB41_4:
	v_cndmask_b32_e64 v1, 0, 1, s[10:11]
	v_mov_b64_e32 v[28:29], 0
	v_cmp_ne_u32_e64 s[6:7], 1, v1
	s_andn2_b64 vcc, exec, s[10:11]
	v_mov_b64_e32 v[26:27], 0
	s_cbranch_vccnz .LBB41_7
; %bb.5:
	s_xor_b64 s[12:13], s[8:9], -1
	s_mov_b64 s[10:11], src_private_base
	s_and_b64 s[8:9], s[8:9], exec
	s_cselect_b32 s3, s11, s31
	s_cselect_b32 s8, 0, s30
	v_mov_b32_e32 v2, s8
	v_mov_b32_e32 v3, s3
	flat_load_dwordx2 v[26:27], v[2:3]
	s_andn2_b64 vcc, exec, s[12:13]
	v_mov_b64_e32 v[28:29], s[4:5]
	s_cbranch_vccnz .LBB41_7
; %bb.6:
	v_mov_b64_e32 v[2:3], s[30:31]
	flat_load_dwordx2 v[28:29], v[2:3] offset:8
.LBB41_7:
	s_load_dword s3, s[0:1], 0x0
	v_lshlrev_b32_e32 v1, 1, v0
	s_lshl_b32 s2, s2, 3
	v_and_b32_e32 v22, 31, v0
	v_and_b32_e32 v1, 0x1c0, v1
	v_mov_b32_e32 v2, 0x800
	v_lshrrev_b32_e32 v0, 5, v0
	s_and_b32 s2, s2, 0x7fffff8
	v_lshl_or_b32 v15, v1, 2, v2
	v_or_b32_e32 v0, s2, v0
	v_lshl_or_b32 v2, v22, 2, v15
	v_mov_b32_e32 v3, -1
	s_waitcnt lgkmcnt(0)
	v_cmp_gt_i32_e32 vcc, s3, v0
	ds_write2_b32 v2, v3, v3 offset1:32
	s_waitcnt lgkmcnt(0)
	s_and_saveexec_b64 s[2:3], vcc
	s_cbranch_execz .LBB41_85
; %bb.8:
	s_load_dwordx16 s[8:23], s[0:1], 0x8
	v_lshlrev_b32_e32 v0, 2, v0
	v_lshlrev_b32_e32 v24, 2, v1
	s_waitcnt lgkmcnt(0)
	global_load_dword v10, v0, s[18:19]
	s_waitcnt vmcnt(0)
	v_ashrrev_i32_e32 v11, 31, v10
	v_lshlrev_b64 v[2:3], 2, v[10:11]
	v_lshl_add_u64 v[4:5], s[8:9], 0, v[2:3]
	global_load_dwordx2 v[4:5], v[4:5], off
	v_lshl_add_u64 v[2:3], s[14:15], 0, v[2:3]
	global_load_dword v14, v[2:3], off
	s_waitcnt vmcnt(1)
	v_subrev_u32_e32 v16, s34, v4
	v_subrev_u32_e32 v2, s34, v5
	v_add_u32_e32 v0, v16, v22
	v_cmp_lt_i32_e32 vcc, v0, v2
	s_and_saveexec_b64 s[2:3], vcc
	s_cbranch_execz .LBB41_31
; %bb.9:
	s_mov_b64 s[4:5], 0
	v_mov_b32_e32 v3, -1
	s_branch .LBB41_11
.LBB41_10:                              ;   in Loop: Header=BB41_11 Depth=1
	s_or_b64 exec, exec, s[18:19]
	v_add_u32_e32 v0, 32, v0
	v_cmp_ge_i32_e32 vcc, v0, v2
	s_or_b64 s[4:5], vcc, s[4:5]
	s_andn2_b64 exec, exec, s[4:5]
	s_cbranch_execz .LBB41_31
.LBB41_11:                              ; =>This Loop Header: Depth=1
                                        ;     Child Loop BB41_20 Depth 2
	v_ashrrev_i32_e32 v1, 31, v0
	v_lshl_add_u64 v[4:5], v[0:1], 2, s[10:11]
	global_load_dword v1, v[4:5], off
	v_mov_b32_e32 v4, 64
	s_mov_b64 s[26:27], 0
                                        ; implicit-def: $sgpr18_sgpr19
                                        ; implicit-def: $sgpr28_sgpr29
                                        ; implicit-def: $sgpr30_sgpr31
	s_waitcnt vmcnt(0)
	v_mul_lo_u32 v6, v1, 39
	s_branch .LBB41_20
.LBB41_12:                              ;   in Loop: Header=BB41_20 Depth=2
	s_or_b64 exec, exec, s[54:55]
	s_orn2_b64 s[50:51], s[50:51], exec
	s_orn2_b64 s[52:53], s[52:53], exec
.LBB41_13:                              ;   in Loop: Header=BB41_20 Depth=2
	s_or_b64 exec, exec, s[48:49]
	s_and_b64 s[50:51], s[50:51], exec
	s_orn2_b64 s[48:49], s[52:53], exec
.LBB41_14:                              ;   in Loop: Header=BB41_20 Depth=2
	s_or_b64 exec, exec, s[46:47]
	s_orn2_b64 s[50:51], s[50:51], exec
	s_orn2_b64 s[46:47], s[48:49], exec
.LBB41_15:                              ;   in Loop: Header=BB41_20 Depth=2
	s_or_b64 exec, exec, s[44:45]
	s_and_b64 s[48:49], s[50:51], exec
	s_orn2_b64 s[44:45], s[46:47], exec
.LBB41_16:                              ;   in Loop: Header=BB41_20 Depth=2
	s_or_b64 exec, exec, s[42:43]
	s_orn2_b64 s[42:43], s[48:49], exec
	s_orn2_b64 s[44:45], s[44:45], exec
.LBB41_17:                              ;   in Loop: Header=BB41_20 Depth=2
	s_or_b64 exec, exec, s[40:41]
	s_and_b64 s[42:43], s[42:43], exec
	s_orn2_b64 s[40:41], s[44:45], exec
.LBB41_18:                              ;   in Loop: Header=BB41_20 Depth=2
	s_or_b64 exec, exec, s[38:39]
	s_andn2_b64 s[30:31], s[30:31], exec
	s_and_b64 s[38:39], s[42:43], exec
	s_or_b64 s[30:31], s[30:31], s[38:39]
	s_andn2_b64 s[28:29], s[28:29], exec
	s_and_b64 s[38:39], s[40:41], exec
	s_or_b64 s[28:29], s[28:29], s[38:39]
.LBB41_19:                              ;   in Loop: Header=BB41_20 Depth=2
	s_or_b64 exec, exec, s[36:37]
	s_and_b64 s[36:37], exec, s[28:29]
	s_or_b64 s[26:27], s[36:37], s[26:27]
	s_andn2_b64 s[18:19], s[18:19], exec
	s_and_b64 s[36:37], s[30:31], exec
	s_or_b64 s[18:19], s[18:19], s[36:37]
	s_andn2_b64 exec, exec, s[26:27]
	s_cbranch_execz .LBB41_29
.LBB41_20:                              ;   Parent Loop BB41_11 Depth=1
                                        ; =>  This Inner Loop Header: Depth=2
	v_and_b32_e32 v5, 63, v6
	v_lshl_add_u32 v7, v5, 2, v15
	ds_read_b32 v8, v7
	s_or_b64 s[30:31], s[30:31], exec
	s_or_b64 s[28:29], s[28:29], exec
	s_waitcnt lgkmcnt(0)
	v_cmp_ne_u32_e32 vcc, v8, v1
	s_and_saveexec_b64 s[36:37], vcc
	s_cbranch_execz .LBB41_19
; %bb.21:                               ;   in Loop: Header=BB41_20 Depth=2
	ds_cmpst_rtn_b32 v7, v7, v3, v1
	s_mov_b64 s[40:41], -1
	s_mov_b64 s[42:43], 0
	s_waitcnt lgkmcnt(0)
	v_cmp_ne_u32_e32 vcc, -1, v7
	s_and_saveexec_b64 s[38:39], vcc
	s_cbranch_execz .LBB41_18
; %bb.22:                               ;   in Loop: Header=BB41_20 Depth=2
	v_add_u32_e32 v5, 1, v6
	v_and_b32_e32 v5, 63, v5
	v_lshl_add_u32 v7, v5, 2, v15
	ds_read_b32 v8, v7
	s_mov_b64 s[44:45], -1
	s_mov_b64 s[42:43], -1
	s_waitcnt lgkmcnt(0)
	v_cmp_ne_u32_e32 vcc, v8, v1
	s_and_saveexec_b64 s[40:41], vcc
	s_cbranch_execz .LBB41_17
; %bb.23:                               ;   in Loop: Header=BB41_20 Depth=2
	ds_cmpst_rtn_b32 v7, v7, v3, v1
	s_mov_b64 s[48:49], 0
	s_waitcnt lgkmcnt(0)
	v_cmp_ne_u32_e32 vcc, -1, v7
	s_and_saveexec_b64 s[42:43], vcc
	s_cbranch_execz .LBB41_16
; %bb.24:                               ;   in Loop: Header=BB41_20 Depth=2
	v_add_u32_e32 v5, 2, v6
	v_and_b32_e32 v5, 63, v5
	v_lshl_add_u32 v7, v5, 2, v15
	ds_read_b32 v8, v7
	s_mov_b64 s[46:47], -1
	s_mov_b64 s[50:51], -1
	s_waitcnt lgkmcnt(0)
	v_cmp_ne_u32_e32 vcc, v8, v1
	s_and_saveexec_b64 s[44:45], vcc
	s_cbranch_execz .LBB41_15
; %bb.25:                               ;   in Loop: Header=BB41_20 Depth=2
	ds_cmpst_rtn_b32 v7, v7, v3, v1
	s_mov_b64 s[48:49], -1
	s_mov_b64 s[50:51], 0
	s_waitcnt lgkmcnt(0)
	v_cmp_ne_u32_e32 vcc, -1, v7
	s_and_saveexec_b64 s[46:47], vcc
	s_cbranch_execz .LBB41_14
; %bb.26:                               ;   in Loop: Header=BB41_20 Depth=2
	v_add_u32_e32 v5, 3, v6
	v_and_b32_e32 v5, 63, v5
	v_lshl_add_u32 v7, v5, 2, v15
	ds_read_b32 v6, v7
	s_mov_b64 s[52:53], -1
	s_mov_b64 s[50:51], -1
	s_waitcnt lgkmcnt(0)
	v_cmp_ne_u32_e32 vcc, v6, v1
                                        ; implicit-def: $vgpr6
	s_and_saveexec_b64 s[48:49], vcc
	s_cbranch_execz .LBB41_13
; %bb.27:                               ;   in Loop: Header=BB41_20 Depth=2
	ds_cmpst_rtn_b32 v6, v7, v3, v1
	s_mov_b64 s[50:51], 0
	s_waitcnt lgkmcnt(0)
	v_cmp_ne_u32_e32 vcc, -1, v6
                                        ; implicit-def: $vgpr6
	s_and_saveexec_b64 s[54:55], vcc
	s_cbranch_execz .LBB41_12
; %bb.28:                               ;   in Loop: Header=BB41_20 Depth=2
	v_add_u32_e32 v4, -4, v4
	v_cmp_eq_u32_e32 vcc, 0, v4
	s_mov_b64 s[50:51], exec
	v_add_u32_e32 v6, 1, v5
	s_orn2_b64 s[52:53], vcc, exec
	s_branch .LBB41_12
.LBB41_29:                              ;   in Loop: Header=BB41_11 Depth=1
	s_or_b64 exec, exec, s[26:27]
	s_xor_b64 s[18:19], s[18:19], -1
	s_and_saveexec_b64 s[26:27], s[18:19]
	s_xor_b64 s[18:19], exec, s[26:27]
	s_cbranch_execz .LBB41_10
; %bb.30:                               ;   in Loop: Header=BB41_11 Depth=1
	v_lshl_add_u32 v1, v5, 2, v24
	ds_write_b32 v1, v0
	s_branch .LBB41_10
.LBB41_31:
	s_or_b64 exec, exec, s[2:3]
	s_waitcnt vmcnt(0)
	v_cmp_lt_i32_e32 vcc, v16, v14
	s_waitcnt lgkmcnt(0)
	s_and_saveexec_b64 s[4:5], vcc
	s_cbranch_execz .LBB41_61
; %bb.32:
	v_add_u32_e32 v25, 1, v22
	s_mov_b64 s[18:19], 0
	s_branch .LBB41_35
.LBB41_33:                              ;   in Loop: Header=BB41_35 Depth=1
	s_or_b64 exec, exec, s[26:27]
	v_add_u32_e32 v16, 1, v16
	v_cmp_ge_i32_e32 vcc, v16, v14
	s_orn2_b64 s[26:27], vcc, exec
.LBB41_34:                              ;   in Loop: Header=BB41_35 Depth=1
	s_or_b64 exec, exec, s[2:3]
	s_and_b64 s[2:3], exec, s[26:27]
	s_or_b64 s[18:19], s[2:3], s[18:19]
	s_andn2_b64 exec, exec, s[18:19]
	s_cbranch_execz .LBB41_61
.LBB41_35:                              ; =>This Loop Header: Depth=1
                                        ;     Child Loop BB41_36 Depth 2
                                        ;     Child Loop BB41_41 Depth 2
                                        ;       Child Loop BB41_50 Depth 3
	v_ashrrev_i32_e32 v17, 31, v16
	v_lshl_add_u64 v[0:1], v[16:17], 2, s[10:11]
	global_load_dword v0, v[0:1], off
	v_lshl_add_u64 v[18:19], v[16:17], 4, s[12:13]
	global_load_dwordx4 v[2:5], v[18:19], off
	s_mov_b64 s[2:3], 0
	s_waitcnt vmcnt(1)
	v_subrev_u32_e32 v0, s34, v0
	v_ashrrev_i32_e32 v1, 31, v0
	v_lshlrev_b64 v[0:1], 2, v[0:1]
	v_lshl_add_u64 v[8:9], s[8:9], 0, v[0:1]
	v_lshl_add_u64 v[20:21], s[14:15], 0, v[0:1]
	global_load_dword v7, v[8:9], off offset:4
	global_load_dword v6, v[20:21], off
	v_lshl_add_u64 v[0:1], s[16:17], 0, v[0:1]
.LBB41_36:                              ;   Parent Loop BB41_35 Depth=1
                                        ; =>  This Inner Loop Header: Depth=2
	global_load_dword v8, v[0:1], off sc1
	s_waitcnt vmcnt(0)
	v_cmp_ne_u32_e32 vcc, 0, v8
	s_or_b64 s[2:3], vcc, s[2:3]
	s_andn2_b64 exec, exec, s[2:3]
	s_cbranch_execnz .LBB41_36
; %bb.37:                               ;   in Loop: Header=BB41_35 Depth=1
	s_or_b64 exec, exec, s[2:3]
	v_subrev_u32_e32 v17, s34, v7
	v_add_u32_e32 v0, -1, v17
	v_cmp_eq_u32_e32 vcc, -1, v6
	buffer_inv sc1
	s_mov_b64 s[26:27], -1
	v_cndmask_b32_e32 v20, v6, v0, vcc
	v_ashrrev_i32_e32 v21, 31, v20
	v_lshl_add_u64 v[0:1], v[20:21], 4, s[12:13]
	global_load_dwordx4 v[6:9], v[0:1], off
	s_waitcnt vmcnt(0)
	v_cmp_neq_f64_e32 vcc, 0, v[6:7]
	v_cmp_neq_f64_e64 s[2:3], 0, v[8:9]
	s_or_b64 s[28:29], vcc, s[2:3]
	s_and_saveexec_b64 s[2:3], s[28:29]
	s_cbranch_execz .LBB41_34
; %bb.38:                               ;   in Loop: Header=BB41_35 Depth=1
	v_mul_f64 v[0:1], v[8:9], v[8:9]
	v_fmac_f64_e32 v[0:1], v[6:7], v[6:7]
	v_div_scale_f64 v[30:31], s[26:27], v[0:1], v[0:1], 1.0
	v_rcp_f64_e32 v[32:33], v[30:31]
	v_div_scale_f64 v[34:35], vcc, 1.0, v[0:1], 1.0
	v_fma_f64 v[36:37], -v[30:31], v[32:33], 1.0
	v_fmac_f64_e32 v[32:33], v[32:33], v[36:37]
	v_fma_f64 v[36:37], -v[30:31], v[32:33], 1.0
	v_fmac_f64_e32 v[32:33], v[32:33], v[36:37]
	v_mul_f64 v[36:37], v[34:35], v[32:33]
	v_fma_f64 v[30:31], -v[30:31], v[36:37], v[34:35]
	v_div_fmas_f64 v[30:31], v[30:31], v[32:33], v[36:37]
	v_div_fixup_f64 v[30:31], v[30:31], v[0:1], 1.0
	v_mul_f64 v[0:1], v[4:5], v[8:9]
	v_fmac_f64_e32 v[0:1], v[2:3], v[6:7]
	v_mul_f64 v[2:3], v[8:9], -v[2:3]
	v_fmac_f64_e32 v[2:3], v[4:5], v[6:7]
	v_add_u32_e32 v4, v25, v20
	v_mul_f64 v[0:1], v[0:1], v[30:31]
	v_mul_f64 v[2:3], v[2:3], v[30:31]
	v_cmp_lt_i32_e32 vcc, v4, v17
	global_store_dwordx4 v[18:19], v[0:3], off
	s_and_saveexec_b64 s[26:27], vcc
	s_cbranch_execz .LBB41_33
; %bb.39:                               ;   in Loop: Header=BB41_35 Depth=1
	s_mov_b64 s[28:29], 0
	s_branch .LBB41_41
.LBB41_40:                              ;   in Loop: Header=BB41_41 Depth=2
	s_or_b64 exec, exec, s[30:31]
	v_add_u32_e32 v4, 32, v4
	v_cmp_ge_i32_e32 vcc, v4, v17
	s_or_b64 s[28:29], vcc, s[28:29]
	s_andn2_b64 exec, exec, s[28:29]
	s_cbranch_execz .LBB41_33
.LBB41_41:                              ;   Parent Loop BB41_35 Depth=1
                                        ; =>  This Loop Header: Depth=2
                                        ;       Child Loop BB41_50 Depth 3
	v_ashrrev_i32_e32 v5, 31, v4
	v_lshl_add_u64 v[6:7], v[4:5], 2, s[10:11]
	global_load_dword v6, v[6:7], off
	v_mov_b32_e32 v7, 64
	s_mov_b64 s[36:37], 0
                                        ; implicit-def: $sgpr30_sgpr31
                                        ; implicit-def: $sgpr38_sgpr39
                                        ; implicit-def: $sgpr40_sgpr41
	s_waitcnt vmcnt(0)
	v_mul_lo_u32 v9, v6, 39
	s_branch .LBB41_50
.LBB41_42:                              ;   in Loop: Header=BB41_50 Depth=3
	s_or_b64 exec, exec, s[60:61]
	s_orn2_b64 s[56:57], s[56:57], exec
	s_orn2_b64 s[58:59], s[58:59], exec
.LBB41_43:                              ;   in Loop: Header=BB41_50 Depth=3
	s_or_b64 exec, exec, s[54:55]
	s_and_b64 s[56:57], s[56:57], exec
	s_orn2_b64 s[54:55], s[58:59], exec
.LBB41_44:                              ;   in Loop: Header=BB41_50 Depth=3
	s_or_b64 exec, exec, s[52:53]
	s_orn2_b64 s[56:57], s[56:57], exec
	s_orn2_b64 s[52:53], s[54:55], exec
.LBB41_45:                              ;   in Loop: Header=BB41_50 Depth=3
	s_or_b64 exec, exec, s[50:51]
	s_and_b64 s[54:55], s[56:57], exec
	s_orn2_b64 s[50:51], s[52:53], exec
.LBB41_46:                              ;   in Loop: Header=BB41_50 Depth=3
	s_or_b64 exec, exec, s[48:49]
	s_orn2_b64 s[48:49], s[54:55], exec
	s_orn2_b64 s[50:51], s[50:51], exec
.LBB41_47:                              ;   in Loop: Header=BB41_50 Depth=3
	s_or_b64 exec, exec, s[46:47]
	s_and_b64 s[48:49], s[48:49], exec
	s_orn2_b64 s[46:47], s[50:51], exec
.LBB41_48:                              ;   in Loop: Header=BB41_50 Depth=3
	s_or_b64 exec, exec, s[44:45]
	s_andn2_b64 s[40:41], s[40:41], exec
	s_and_b64 s[44:45], s[48:49], exec
	s_or_b64 s[40:41], s[40:41], s[44:45]
	s_andn2_b64 s[38:39], s[38:39], exec
	s_and_b64 s[44:45], s[46:47], exec
	s_or_b64 s[38:39], s[38:39], s[44:45]
.LBB41_49:                              ;   in Loop: Header=BB41_50 Depth=3
	s_or_b64 exec, exec, s[42:43]
	s_and_b64 s[42:43], exec, s[38:39]
	s_or_b64 s[36:37], s[42:43], s[36:37]
	s_andn2_b64 s[30:31], s[30:31], exec
	s_and_b64 s[42:43], s[40:41], exec
	s_or_b64 s[30:31], s[30:31], s[42:43]
	s_andn2_b64 exec, exec, s[36:37]
	s_cbranch_execz .LBB41_59
.LBB41_50:                              ;   Parent Loop BB41_35 Depth=1
                                        ;     Parent Loop BB41_41 Depth=2
                                        ; =>    This Inner Loop Header: Depth=3
	v_and_b32_e32 v8, 63, v9
	v_lshl_add_u32 v18, v8, 2, v15
	ds_read_b32 v18, v18
	s_or_b64 s[40:41], s[40:41], exec
	s_or_b64 s[38:39], s[38:39], exec
	s_waitcnt lgkmcnt(0)
	v_cmp_ne_u32_e32 vcc, -1, v18
	s_and_saveexec_b64 s[42:43], vcc
	s_cbranch_execz .LBB41_49
; %bb.51:                               ;   in Loop: Header=BB41_50 Depth=3
	v_cmp_ne_u32_e32 vcc, v18, v6
	s_mov_b64 s[46:47], -1
	s_mov_b64 s[48:49], 0
	s_and_saveexec_b64 s[44:45], vcc
	s_cbranch_execz .LBB41_48
; %bb.52:                               ;   in Loop: Header=BB41_50 Depth=3
	v_add_u32_e32 v8, 1, v9
	v_and_b32_e32 v8, 63, v8
	v_lshl_add_u32 v18, v8, 2, v15
	ds_read_b32 v18, v18
	s_mov_b64 s[50:51], -1
	s_mov_b64 s[48:49], -1
	s_waitcnt lgkmcnt(0)
	v_cmp_ne_u32_e32 vcc, -1, v18
	s_and_saveexec_b64 s[46:47], vcc
	s_cbranch_execz .LBB41_47
; %bb.53:                               ;   in Loop: Header=BB41_50 Depth=3
	v_cmp_ne_u32_e32 vcc, v18, v6
	s_mov_b64 s[54:55], 0
	s_and_saveexec_b64 s[48:49], vcc
	s_cbranch_execz .LBB41_46
; %bb.54:                               ;   in Loop: Header=BB41_50 Depth=3
	v_add_u32_e32 v8, 2, v9
	v_and_b32_e32 v8, 63, v8
	v_lshl_add_u32 v18, v8, 2, v15
	ds_read_b32 v18, v18
	s_mov_b64 s[52:53], -1
	s_mov_b64 s[56:57], -1
	s_waitcnt lgkmcnt(0)
	v_cmp_ne_u32_e32 vcc, -1, v18
	s_and_saveexec_b64 s[50:51], vcc
	s_cbranch_execz .LBB41_45
; %bb.55:                               ;   in Loop: Header=BB41_50 Depth=3
	v_cmp_ne_u32_e32 vcc, v18, v6
	s_mov_b64 s[54:55], -1
	s_mov_b64 s[56:57], 0
	s_and_saveexec_b64 s[52:53], vcc
	s_cbranch_execz .LBB41_44
; %bb.56:                               ;   in Loop: Header=BB41_50 Depth=3
	v_add_u32_e32 v8, 3, v9
	v_and_b32_e32 v8, 63, v8
	v_lshl_add_u32 v9, v8, 2, v15
	ds_read_b32 v18, v9
	s_mov_b64 s[58:59], -1
	s_mov_b64 s[56:57], -1
                                        ; implicit-def: $vgpr9
	s_waitcnt lgkmcnt(0)
	v_cmp_ne_u32_e32 vcc, -1, v18
	s_and_saveexec_b64 s[54:55], vcc
	s_cbranch_execz .LBB41_43
; %bb.57:                               ;   in Loop: Header=BB41_50 Depth=3
	v_cmp_ne_u32_e32 vcc, v18, v6
	s_mov_b64 s[56:57], 0
                                        ; implicit-def: $vgpr9
	s_and_saveexec_b64 s[60:61], vcc
	s_cbranch_execz .LBB41_42
; %bb.58:                               ;   in Loop: Header=BB41_50 Depth=3
	v_add_u32_e32 v7, -4, v7
	v_cmp_eq_u32_e32 vcc, 0, v7
	s_mov_b64 s[56:57], exec
	v_add_u32_e32 v9, 1, v8
	s_orn2_b64 s[58:59], vcc, exec
	s_branch .LBB41_42
.LBB41_59:                              ;   in Loop: Header=BB41_41 Depth=2
	s_or_b64 exec, exec, s[36:37]
	s_xor_b64 s[30:31], s[30:31], -1
	s_and_saveexec_b64 s[36:37], s[30:31]
	s_xor_b64 s[30:31], exec, s[36:37]
	s_cbranch_execz .LBB41_40
; %bb.60:                               ;   in Loop: Header=BB41_41 Depth=2
	v_lshl_add_u32 v6, v8, 2, v24
	ds_read_b32 v6, v6
	v_lshl_add_u64 v[30:31], v[4:5], 4, s[12:13]
	s_waitcnt lgkmcnt(0)
	v_ashrrev_i32_e32 v7, 31, v6
	v_lshl_add_u64 v[32:33], v[6:7], 4, s[12:13]
	global_load_dwordx4 v[6:9], v[30:31], off
	global_load_dwordx4 v[18:21], v[32:33], off
	s_waitcnt vmcnt(0)
	v_fma_f64 v[18:19], -v[0:1], v[6:7], v[18:19]
	v_fma_f64 v[6:7], -v[2:3], v[6:7], v[20:21]
	v_fmac_f64_e32 v[18:19], v[2:3], v[8:9]
	v_fma_f64 v[20:21], -v[0:1], v[8:9], v[6:7]
	global_store_dwordx4 v[32:33], v[18:21], off
	s_branch .LBB41_40
.LBB41_61:
	s_or_b64 exec, exec, s[4:5]
	v_cmp_lt_i32_e32 vcc, -1, v14
	s_and_saveexec_b64 s[2:3], vcc
	s_cbranch_execz .LBB41_83
; %bb.62:
	v_mov_b32_e32 v15, 0
	v_lshl_add_u64 v[4:5], v[14:15], 4, s[12:13]
	global_load_dwordx4 v[0:3], v[4:5], off
                                        ; implicit-def: $vgpr14_vgpr15
	s_waitcnt vmcnt(0)
	v_xor_b32_e32 v7, 0x80000000, v1
	v_cmp_gt_f64_e32 vcc, 0, v[0:1]
	v_xor_b32_e32 v8, 0x80000000, v3
	v_mov_b32_e32 v6, v0
	v_cndmask_b32_e32 v7, v1, v7, vcc
	v_cmp_gt_f64_e32 vcc, 0, v[2:3]
	s_nop 1
	v_cndmask_b32_e32 v9, v3, v8, vcc
	v_mov_b32_e32 v8, v2
	v_cmp_ngt_f64_e32 vcc, v[6:7], v[8:9]
	s_and_saveexec_b64 s[4:5], vcc
	s_xor_b64 s[4:5], exec, s[4:5]
	s_cbranch_execz .LBB41_66
; %bb.63:
	v_mov_b64_e32 v[14:15], 0
	v_cmp_neq_f64_e32 vcc, 0, v[2:3]
	s_and_saveexec_b64 s[8:9], vcc
	s_cbranch_execz .LBB41_65
; %bb.64:
	v_div_scale_f64 v[14:15], s[10:11], v[8:9], v[8:9], v[6:7]
	v_rcp_f64_e32 v[16:17], v[14:15]
	v_div_scale_f64 v[18:19], vcc, v[6:7], v[8:9], v[6:7]
	s_mov_b32 s10, 0
	v_fma_f64 v[20:21], -v[14:15], v[16:17], 1.0
	v_fmac_f64_e32 v[16:17], v[16:17], v[20:21]
	v_fma_f64 v[20:21], -v[14:15], v[16:17], 1.0
	v_fmac_f64_e32 v[16:17], v[16:17], v[20:21]
	v_mul_f64 v[20:21], v[18:19], v[16:17]
	v_fma_f64 v[14:15], -v[14:15], v[20:21], v[18:19]
	v_div_fmas_f64 v[14:15], v[14:15], v[16:17], v[20:21]
	v_div_fixup_f64 v[6:7], v[14:15], v[8:9], v[6:7]
	v_fma_f64 v[6:7], v[6:7], v[6:7], 1.0
	s_brev_b32 s11, 8
	v_mov_b32_e32 v14, 0x100
	v_cmp_gt_f64_e32 vcc, s[10:11], v[6:7]
	s_nop 1
	v_cndmask_b32_e32 v14, 0, v14, vcc
	v_ldexp_f64 v[6:7], v[6:7], v14
	v_rsq_f64_e32 v[14:15], v[6:7]
	s_nop 0
	v_mul_f64 v[16:17], v[6:7], v[14:15]
	v_mul_f64 v[14:15], v[14:15], 0.5
	v_fma_f64 v[18:19], -v[14:15], v[16:17], 0.5
	v_fmac_f64_e32 v[16:17], v[16:17], v[18:19]
	v_fma_f64 v[20:21], -v[16:17], v[16:17], v[6:7]
	v_fmac_f64_e32 v[14:15], v[14:15], v[18:19]
	v_fmac_f64_e32 v[16:17], v[20:21], v[14:15]
	v_fma_f64 v[18:19], -v[16:17], v[16:17], v[6:7]
	v_fmac_f64_e32 v[16:17], v[18:19], v[14:15]
	v_mov_b32_e32 v14, 0xffffff80
	v_cndmask_b32_e32 v14, 0, v14, vcc
	v_ldexp_f64 v[14:15], v[16:17], v14
	v_mov_b32_e32 v16, 0x260
	v_cmp_class_f64_e32 vcc, v[6:7], v16
	s_nop 1
	v_cndmask_b32_e32 v7, v15, v7, vcc
	v_cndmask_b32_e32 v6, v14, v6, vcc
	v_mul_f64 v[14:15], v[8:9], v[6:7]
.LBB41_65:
	s_or_b64 exec, exec, s[8:9]
                                        ; implicit-def: $vgpr6_vgpr7
                                        ; implicit-def: $vgpr8_vgpr9
.LBB41_66:
	s_andn2_saveexec_b64 s[4:5], s[4:5]
	s_cbranch_execz .LBB41_68
; %bb.67:
	v_div_scale_f64 v[14:15], s[8:9], v[6:7], v[6:7], v[8:9]
	v_rcp_f64_e32 v[16:17], v[14:15]
	v_div_scale_f64 v[18:19], vcc, v[8:9], v[6:7], v[8:9]
	s_mov_b32 s8, 0
	v_fma_f64 v[20:21], -v[14:15], v[16:17], 1.0
	v_fmac_f64_e32 v[16:17], v[16:17], v[20:21]
	v_fma_f64 v[20:21], -v[14:15], v[16:17], 1.0
	v_fmac_f64_e32 v[16:17], v[16:17], v[20:21]
	v_mul_f64 v[20:21], v[18:19], v[16:17]
	v_fma_f64 v[14:15], -v[14:15], v[20:21], v[18:19]
	v_div_fmas_f64 v[14:15], v[14:15], v[16:17], v[20:21]
	v_div_fixup_f64 v[8:9], v[14:15], v[6:7], v[8:9]
	v_fma_f64 v[8:9], v[8:9], v[8:9], 1.0
	s_brev_b32 s9, 8
	v_mov_b32_e32 v14, 0x100
	v_cmp_gt_f64_e32 vcc, s[8:9], v[8:9]
	s_nop 1
	v_cndmask_b32_e32 v14, 0, v14, vcc
	v_ldexp_f64 v[8:9], v[8:9], v14
	v_rsq_f64_e32 v[14:15], v[8:9]
	s_nop 0
	v_mul_f64 v[16:17], v[8:9], v[14:15]
	v_mul_f64 v[14:15], v[14:15], 0.5
	v_fma_f64 v[18:19], -v[14:15], v[16:17], 0.5
	v_fmac_f64_e32 v[16:17], v[16:17], v[18:19]
	v_fma_f64 v[20:21], -v[16:17], v[16:17], v[8:9]
	v_fmac_f64_e32 v[14:15], v[14:15], v[18:19]
	v_fmac_f64_e32 v[16:17], v[20:21], v[14:15]
	v_fma_f64 v[18:19], -v[16:17], v[16:17], v[8:9]
	v_fmac_f64_e32 v[16:17], v[18:19], v[14:15]
	v_mov_b32_e32 v14, 0xffffff80
	v_cndmask_b32_e32 v14, 0, v14, vcc
	v_ldexp_f64 v[14:15], v[16:17], v14
	v_mov_b32_e32 v16, 0x260
	v_cmp_class_f64_e32 vcc, v[8:9], v16
	s_nop 1
	v_cndmask_b32_e32 v9, v15, v9, vcc
	v_cndmask_b32_e32 v8, v14, v8, vcc
	v_mul_f64 v[14:15], v[6:7], v[8:9]
.LBB41_68:
	s_or_b64 exec, exec, s[4:5]
	v_cmp_eq_u32_e64 s[4:5], 0, v22
	s_and_b64 vcc, exec, s[6:7]
	s_mov_b64 s[6:7], -1
	s_cbranch_vccnz .LBB41_72
; %bb.69:
	s_cmp_eq_u64 s[24:25], 8
	v_cvt_f64_f32_e32 v[6:7], v23
	s_cselect_b64 vcc, -1, 0
	v_cndmask_b32_e32 v7, v7, v13, vcc
	v_cndmask_b32_e32 v6, v6, v12, vcc
	v_cmp_le_f64_e32 vcc, v[14:15], v[6:7]
	s_and_b64 s[8:9], s[4:5], vcc
	s_and_saveexec_b64 s[6:7], s[8:9]
	s_cbranch_execz .LBB41_71
; %bb.70:
	global_store_dwordx4 v[4:5], v[26:29], off
	buffer_wbl2 sc1
	s_waitcnt vmcnt(0)
	buffer_inv sc1
.LBB41_71:
	s_or_b64 exec, exec, s[6:7]
	s_mov_b64 s[6:7], 0
.LBB41_72:
	s_andn2_b64 vcc, exec, s[6:7]
	s_cbranch_vccnz .LBB41_83
; %bb.73:
	s_load_dwordx2 s[0:1], s[0:1], 0x48
	v_add_u32_e32 v4, s34, v10
	s_waitcnt lgkmcnt(0)
	v_cmp_ge_f64_e32 vcc, s[0:1], v[14:15]
	s_and_b64 s[6:7], s[4:5], vcc
	s_and_saveexec_b64 s[0:1], s[6:7]
	s_cbranch_execz .LBB41_78
; %bb.74:
	s_mov_b64 s[6:7], exec
	s_brev_b32 s8, -2
.LBB41_75:                              ; =>This Inner Loop Header: Depth=1
	s_ff1_i32_b64 s9, s[6:7]
	v_readlane_b32 s12, v4, s9
	s_lshl_b64 s[10:11], 1, s9
	s_min_i32 s8, s8, s12
	s_andn2_b64 s[6:7], s[6:7], s[10:11]
	s_cmp_lg_u64 s[6:7], 0
	s_cbranch_scc1 .LBB41_75
; %bb.76:
	v_mbcnt_lo_u32_b32 v5, exec_lo, 0
	v_mbcnt_hi_u32_b32 v5, exec_hi, v5
	v_cmp_eq_u32_e32 vcc, 0, v5
	s_and_saveexec_b64 s[6:7], vcc
	s_xor_b64 s[6:7], exec, s[6:7]
	s_cbranch_execz .LBB41_78
; %bb.77:
	v_mov_b32_e32 v5, 0
	v_mov_b32_e32 v6, s8
	global_atomic_smin v5, v6, s[22:23]
.LBB41_78:
	s_or_b64 exec, exec, s[0:1]
	v_cmp_eq_f64_e32 vcc, 0, v[0:1]
	v_cmp_eq_f64_e64 s[0:1], 0, v[2:3]
	s_and_b64 s[0:1], vcc, s[0:1]
	s_and_b64 s[0:1], s[4:5], s[0:1]
	s_and_b64 exec, exec, s[0:1]
	s_cbranch_execz .LBB41_83
; %bb.79:
	s_mov_b64 s[0:1], exec
	s_brev_b32 s4, -2
.LBB41_80:                              ; =>This Inner Loop Header: Depth=1
	s_ff1_i32_b64 s5, s[0:1]
	v_readlane_b32 s8, v4, s5
	s_lshl_b64 s[6:7], 1, s5
	s_min_i32 s4, s4, s8
	s_andn2_b64 s[0:1], s[0:1], s[6:7]
	s_cmp_lg_u64 s[0:1], 0
	s_cbranch_scc1 .LBB41_80
; %bb.81:
	v_mbcnt_lo_u32_b32 v0, exec_lo, 0
	v_mbcnt_hi_u32_b32 v0, exec_hi, v0
	v_cmp_eq_u32_e32 vcc, 0, v0
	s_and_saveexec_b64 s[0:1], vcc
	s_xor_b64 s[0:1], exec, s[0:1]
	s_cbranch_execz .LBB41_83
; %bb.82:
	v_mov_b32_e32 v0, 0
	v_mov_b32_e32 v1, s4
	global_atomic_smin v0, v1, s[20:21]
.LBB41_83:
	s_or_b64 exec, exec, s[2:3]
	v_cmp_eq_u32_e32 vcc, 0, v22
	buffer_wbl2 sc1
	s_waitcnt vmcnt(0)
	buffer_inv sc1
	s_and_b64 exec, exec, vcc
	s_cbranch_execz .LBB41_85
; %bb.84:
	v_lshl_add_u64 v[0:1], v[10:11], 2, s[16:17]
	v_mov_b32_e32 v2, 1
	buffer_wbl2 sc1
	global_store_dword v[0:1], v2, off sc1
.LBB41_85:
	s_endpgm
	.section	.rodata,"a",@progbits
	.p2align	6, 0x0
	.amdhsa_kernel _ZN9rocsparseL12csrilu0_hashILj256ELj32ELj2E21rocsparse_complex_numIdEEEviPKiS4_PT2_S4_PiS4_S7_S7_d21rocsparse_index_base_imNS_24const_host_device_scalarIfEENS9_IdEENS9_IS5_EEb
		.amdhsa_group_segment_fixed_size 4096
		.amdhsa_private_segment_fixed_size 16
		.amdhsa_kernarg_size 132
		.amdhsa_user_sgpr_count 2
		.amdhsa_user_sgpr_dispatch_ptr 0
		.amdhsa_user_sgpr_queue_ptr 0
		.amdhsa_user_sgpr_kernarg_segment_ptr 1
		.amdhsa_user_sgpr_dispatch_id 0
		.amdhsa_user_sgpr_kernarg_preload_length 0
		.amdhsa_user_sgpr_kernarg_preload_offset 0
		.amdhsa_user_sgpr_private_segment_size 0
		.amdhsa_uses_dynamic_stack 0
		.amdhsa_enable_private_segment 1
		.amdhsa_system_sgpr_workgroup_id_x 1
		.amdhsa_system_sgpr_workgroup_id_y 0
		.amdhsa_system_sgpr_workgroup_id_z 0
		.amdhsa_system_sgpr_workgroup_info 0
		.amdhsa_system_vgpr_workitem_id 0
		.amdhsa_next_free_vgpr 38
		.amdhsa_next_free_sgpr 62
		.amdhsa_accum_offset 40
		.amdhsa_reserve_vcc 1
		.amdhsa_float_round_mode_32 0
		.amdhsa_float_round_mode_16_64 0
		.amdhsa_float_denorm_mode_32 3
		.amdhsa_float_denorm_mode_16_64 3
		.amdhsa_dx10_clamp 1
		.amdhsa_ieee_mode 1
		.amdhsa_fp16_overflow 0
		.amdhsa_tg_split 0
		.amdhsa_exception_fp_ieee_invalid_op 0
		.amdhsa_exception_fp_denorm_src 0
		.amdhsa_exception_fp_ieee_div_zero 0
		.amdhsa_exception_fp_ieee_overflow 0
		.amdhsa_exception_fp_ieee_underflow 0
		.amdhsa_exception_fp_ieee_inexact 0
		.amdhsa_exception_int_div_zero 0
	.end_amdhsa_kernel
	.section	.text._ZN9rocsparseL12csrilu0_hashILj256ELj32ELj2E21rocsparse_complex_numIdEEEviPKiS4_PT2_S4_PiS4_S7_S7_d21rocsparse_index_base_imNS_24const_host_device_scalarIfEENS9_IdEENS9_IS5_EEb,"axG",@progbits,_ZN9rocsparseL12csrilu0_hashILj256ELj32ELj2E21rocsparse_complex_numIdEEEviPKiS4_PT2_S4_PiS4_S7_S7_d21rocsparse_index_base_imNS_24const_host_device_scalarIfEENS9_IdEENS9_IS5_EEb,comdat
.Lfunc_end41:
	.size	_ZN9rocsparseL12csrilu0_hashILj256ELj32ELj2E21rocsparse_complex_numIdEEEviPKiS4_PT2_S4_PiS4_S7_S7_d21rocsparse_index_base_imNS_24const_host_device_scalarIfEENS9_IdEENS9_IS5_EEb, .Lfunc_end41-_ZN9rocsparseL12csrilu0_hashILj256ELj32ELj2E21rocsparse_complex_numIdEEEviPKiS4_PT2_S4_PiS4_S7_S7_d21rocsparse_index_base_imNS_24const_host_device_scalarIfEENS9_IdEENS9_IS5_EEb
                                        ; -- End function
	.set _ZN9rocsparseL12csrilu0_hashILj256ELj32ELj2E21rocsparse_complex_numIdEEEviPKiS4_PT2_S4_PiS4_S7_S7_d21rocsparse_index_base_imNS_24const_host_device_scalarIfEENS9_IdEENS9_IS5_EEb.num_vgpr, 38
	.set _ZN9rocsparseL12csrilu0_hashILj256ELj32ELj2E21rocsparse_complex_numIdEEEviPKiS4_PT2_S4_PiS4_S7_S7_d21rocsparse_index_base_imNS_24const_host_device_scalarIfEENS9_IdEENS9_IS5_EEb.num_agpr, 0
	.set _ZN9rocsparseL12csrilu0_hashILj256ELj32ELj2E21rocsparse_complex_numIdEEEviPKiS4_PT2_S4_PiS4_S7_S7_d21rocsparse_index_base_imNS_24const_host_device_scalarIfEENS9_IdEENS9_IS5_EEb.numbered_sgpr, 62
	.set _ZN9rocsparseL12csrilu0_hashILj256ELj32ELj2E21rocsparse_complex_numIdEEEviPKiS4_PT2_S4_PiS4_S7_S7_d21rocsparse_index_base_imNS_24const_host_device_scalarIfEENS9_IdEENS9_IS5_EEb.num_named_barrier, 0
	.set _ZN9rocsparseL12csrilu0_hashILj256ELj32ELj2E21rocsparse_complex_numIdEEEviPKiS4_PT2_S4_PiS4_S7_S7_d21rocsparse_index_base_imNS_24const_host_device_scalarIfEENS9_IdEENS9_IS5_EEb.private_seg_size, 16
	.set _ZN9rocsparseL12csrilu0_hashILj256ELj32ELj2E21rocsparse_complex_numIdEEEviPKiS4_PT2_S4_PiS4_S7_S7_d21rocsparse_index_base_imNS_24const_host_device_scalarIfEENS9_IdEENS9_IS5_EEb.uses_vcc, 1
	.set _ZN9rocsparseL12csrilu0_hashILj256ELj32ELj2E21rocsparse_complex_numIdEEEviPKiS4_PT2_S4_PiS4_S7_S7_d21rocsparse_index_base_imNS_24const_host_device_scalarIfEENS9_IdEENS9_IS5_EEb.uses_flat_scratch, 0
	.set _ZN9rocsparseL12csrilu0_hashILj256ELj32ELj2E21rocsparse_complex_numIdEEEviPKiS4_PT2_S4_PiS4_S7_S7_d21rocsparse_index_base_imNS_24const_host_device_scalarIfEENS9_IdEENS9_IS5_EEb.has_dyn_sized_stack, 0
	.set _ZN9rocsparseL12csrilu0_hashILj256ELj32ELj2E21rocsparse_complex_numIdEEEviPKiS4_PT2_S4_PiS4_S7_S7_d21rocsparse_index_base_imNS_24const_host_device_scalarIfEENS9_IdEENS9_IS5_EEb.has_recursion, 0
	.set _ZN9rocsparseL12csrilu0_hashILj256ELj32ELj2E21rocsparse_complex_numIdEEEviPKiS4_PT2_S4_PiS4_S7_S7_d21rocsparse_index_base_imNS_24const_host_device_scalarIfEENS9_IdEENS9_IS5_EEb.has_indirect_call, 0
	.section	.AMDGPU.csdata,"",@progbits
; Kernel info:
; codeLenInByte = 3108
; TotalNumSgprs: 68
; NumVgprs: 38
; NumAgprs: 0
; TotalNumVgprs: 38
; ScratchSize: 16
; MemoryBound: 0
; FloatMode: 240
; IeeeMode: 1
; LDSByteSize: 4096 bytes/workgroup (compile time only)
; SGPRBlocks: 8
; VGPRBlocks: 4
; NumSGPRsForWavesPerEU: 68
; NumVGPRsForWavesPerEU: 38
; AccumOffset: 40
; Occupancy: 8
; WaveLimiterHint : 1
; COMPUTE_PGM_RSRC2:SCRATCH_EN: 1
; COMPUTE_PGM_RSRC2:USER_SGPR: 2
; COMPUTE_PGM_RSRC2:TRAP_HANDLER: 0
; COMPUTE_PGM_RSRC2:TGID_X_EN: 1
; COMPUTE_PGM_RSRC2:TGID_Y_EN: 0
; COMPUTE_PGM_RSRC2:TGID_Z_EN: 0
; COMPUTE_PGM_RSRC2:TIDIG_COMP_CNT: 0
; COMPUTE_PGM_RSRC3_GFX90A:ACCUM_OFFSET: 9
; COMPUTE_PGM_RSRC3_GFX90A:TG_SPLIT: 0
	.section	.text._ZN9rocsparseL12csrilu0_hashILj256ELj32ELj4E21rocsparse_complex_numIdEEEviPKiS4_PT2_S4_PiS4_S7_S7_d21rocsparse_index_base_imNS_24const_host_device_scalarIfEENS9_IdEENS9_IS5_EEb,"axG",@progbits,_ZN9rocsparseL12csrilu0_hashILj256ELj32ELj4E21rocsparse_complex_numIdEEEviPKiS4_PT2_S4_PiS4_S7_S7_d21rocsparse_index_base_imNS_24const_host_device_scalarIfEENS9_IdEENS9_IS5_EEb,comdat
	.globl	_ZN9rocsparseL12csrilu0_hashILj256ELj32ELj4E21rocsparse_complex_numIdEEEviPKiS4_PT2_S4_PiS4_S7_S7_d21rocsparse_index_base_imNS_24const_host_device_scalarIfEENS9_IdEENS9_IS5_EEb ; -- Begin function _ZN9rocsparseL12csrilu0_hashILj256ELj32ELj4E21rocsparse_complex_numIdEEEviPKiS4_PT2_S4_PiS4_S7_S7_d21rocsparse_index_base_imNS_24const_host_device_scalarIfEENS9_IdEENS9_IS5_EEb
	.p2align	8
	.type	_ZN9rocsparseL12csrilu0_hashILj256ELj32ELj4E21rocsparse_complex_numIdEEEviPKiS4_PT2_S4_PiS4_S7_S7_d21rocsparse_index_base_imNS_24const_host_device_scalarIfEENS9_IdEENS9_IS5_EEb,@function
_ZN9rocsparseL12csrilu0_hashILj256ELj32ELj4E21rocsparse_complex_numIdEEEviPKiS4_PT2_S4_PiS4_S7_S7_d21rocsparse_index_base_imNS_24const_host_device_scalarIfEENS9_IdEENS9_IS5_EEb: ; @_ZN9rocsparseL12csrilu0_hashILj256ELj32ELj4E21rocsparse_complex_numIdEEEviPKiS4_PT2_S4_PiS4_S7_S7_d21rocsparse_index_base_imNS_24const_host_device_scalarIfEENS9_IdEENS9_IS5_EEb
; %bb.0:
	s_load_dword s3, s[0:1], 0x80
	s_load_dwordx8 s[24:31], s[0:1], 0x58
	s_load_dwordx2 s[4:5], s[0:1], 0x78
	s_load_dwordx2 s[34:35], s[0:1], 0x50
	s_waitcnt lgkmcnt(0)
	s_bitcmp1_b32 s3, 0
	s_cselect_b64 s[8:9], -1, 0
	v_mov_b64_e32 v[2:3], s[30:31]
	s_cmp_eq_u32 s35, 0
	s_cselect_b64 s[14:15], -1, 0
	s_cmp_lg_u32 s35, 0
	s_cselect_b64 s[10:11], -1, 0
	s_or_b64 s[16:17], s[14:15], s[8:9]
	s_xor_b64 s[6:7], s[16:17], -1
	s_and_b64 s[12:13], s[14:15], exec
	s_cselect_b32 s13, 0, s29
	s_cselect_b32 s12, 0, s28
	s_and_b64 vcc, exec, s[16:17]
	scratch_store_dwordx2 off, v[2:3], off
	s_cbranch_vccnz .LBB42_2
; %bb.1:
	s_load_dword s3, s[26:27], 0x0
	s_mov_b64 s[12:13], s[28:29]
	s_waitcnt lgkmcnt(0)
	v_mov_b32_e32 v23, s3
	s_andn2_b64 vcc, exec, s[6:7]
	v_mov_b64_e32 v[12:13], s[12:13]
	s_cbranch_vccz .LBB42_3
	s_branch .LBB42_4
.LBB42_2:
	v_mov_b32_e32 v1, s26
	v_cndmask_b32_e64 v23, v1, 0, s[14:15]
	s_andn2_b64 vcc, exec, s[6:7]
	v_mov_b64_e32 v[12:13], s[12:13]
	s_cbranch_vccnz .LBB42_4
.LBB42_3:
	v_mov_b64_e32 v[2:3], s[28:29]
	flat_load_dwordx2 v[12:13], v[2:3]
.LBB42_4:
	v_cndmask_b32_e64 v1, 0, 1, s[10:11]
	v_mov_b64_e32 v[28:29], 0
	v_cmp_ne_u32_e64 s[6:7], 1, v1
	s_andn2_b64 vcc, exec, s[10:11]
	v_mov_b64_e32 v[26:27], 0
	s_cbranch_vccnz .LBB42_7
; %bb.5:
	s_xor_b64 s[12:13], s[8:9], -1
	s_mov_b64 s[10:11], src_private_base
	s_and_b64 s[8:9], s[8:9], exec
	s_cselect_b32 s3, s11, s31
	s_cselect_b32 s8, 0, s30
	v_mov_b32_e32 v2, s8
	v_mov_b32_e32 v3, s3
	flat_load_dwordx2 v[26:27], v[2:3]
	s_andn2_b64 vcc, exec, s[12:13]
	v_mov_b64_e32 v[28:29], s[4:5]
	s_cbranch_vccnz .LBB42_7
; %bb.6:
	v_mov_b64_e32 v[2:3], s[30:31]
	flat_load_dwordx2 v[28:29], v[2:3] offset:8
.LBB42_7:
	s_load_dword s3, s[0:1], 0x0
	v_lshlrev_b32_e32 v1, 2, v0
	s_lshl_b32 s2, s2, 3
	v_and_b32_e32 v22, 31, v0
	v_and_b32_e32 v1, 0x380, v1
	v_mov_b32_e32 v2, 0x1000
	v_lshrrev_b32_e32 v0, 5, v0
	s_and_b32 s2, s2, 0x7fffff8
	v_lshl_or_b32 v15, v1, 2, v2
	v_or_b32_e32 v0, s2, v0
	v_lshl_or_b32 v2, v22, 2, v15
	v_mov_b32_e32 v3, -1
	s_waitcnt lgkmcnt(0)
	v_cmp_gt_i32_e32 vcc, s3, v0
	ds_write2_b32 v2, v3, v3 offset1:32
	ds_write2_b32 v2, v3, v3 offset0:64 offset1:96
	s_waitcnt lgkmcnt(0)
	s_and_saveexec_b64 s[2:3], vcc
	s_cbranch_execz .LBB42_85
; %bb.8:
	s_load_dwordx16 s[8:23], s[0:1], 0x8
	v_lshlrev_b32_e32 v0, 2, v0
	v_lshlrev_b32_e32 v24, 2, v1
	s_waitcnt lgkmcnt(0)
	global_load_dword v10, v0, s[18:19]
	s_waitcnt vmcnt(0)
	v_ashrrev_i32_e32 v11, 31, v10
	v_lshlrev_b64 v[2:3], 2, v[10:11]
	v_lshl_add_u64 v[4:5], s[8:9], 0, v[2:3]
	global_load_dwordx2 v[4:5], v[4:5], off
	v_lshl_add_u64 v[2:3], s[14:15], 0, v[2:3]
	global_load_dword v14, v[2:3], off
	s_waitcnt vmcnt(1)
	v_subrev_u32_e32 v16, s34, v4
	v_subrev_u32_e32 v2, s34, v5
	v_add_u32_e32 v0, v16, v22
	v_cmp_lt_i32_e32 vcc, v0, v2
	s_and_saveexec_b64 s[2:3], vcc
	s_cbranch_execz .LBB42_31
; %bb.9:
	s_mov_b64 s[4:5], 0
	s_movk_i32 s33, 0x67
	v_mov_b32_e32 v3, -1
	s_branch .LBB42_11
.LBB42_10:                              ;   in Loop: Header=BB42_11 Depth=1
	s_or_b64 exec, exec, s[18:19]
	v_add_u32_e32 v0, 32, v0
	v_cmp_ge_i32_e32 vcc, v0, v2
	s_or_b64 s[4:5], vcc, s[4:5]
	s_andn2_b64 exec, exec, s[4:5]
	s_cbranch_execz .LBB42_31
.LBB42_11:                              ; =>This Loop Header: Depth=1
                                        ;     Child Loop BB42_20 Depth 2
	v_ashrrev_i32_e32 v1, 31, v0
	v_lshl_add_u64 v[4:5], v[0:1], 2, s[10:11]
	global_load_dword v1, v[4:5], off
	v_mov_b32_e32 v4, 0x80
	s_mov_b64 s[26:27], 0
                                        ; implicit-def: $sgpr18_sgpr19
                                        ; implicit-def: $sgpr28_sgpr29
                                        ; implicit-def: $sgpr30_sgpr31
	s_waitcnt vmcnt(0)
	v_mul_lo_u32 v6, v1, s33
	s_branch .LBB42_20
.LBB42_12:                              ;   in Loop: Header=BB42_20 Depth=2
	s_or_b64 exec, exec, s[54:55]
	s_orn2_b64 s[50:51], s[50:51], exec
	s_orn2_b64 s[52:53], s[52:53], exec
.LBB42_13:                              ;   in Loop: Header=BB42_20 Depth=2
	s_or_b64 exec, exec, s[48:49]
	s_and_b64 s[50:51], s[50:51], exec
	s_orn2_b64 s[48:49], s[52:53], exec
.LBB42_14:                              ;   in Loop: Header=BB42_20 Depth=2
	s_or_b64 exec, exec, s[46:47]
	s_orn2_b64 s[50:51], s[50:51], exec
	s_orn2_b64 s[46:47], s[48:49], exec
.LBB42_15:                              ;   in Loop: Header=BB42_20 Depth=2
	s_or_b64 exec, exec, s[44:45]
	s_and_b64 s[48:49], s[50:51], exec
	s_orn2_b64 s[44:45], s[46:47], exec
.LBB42_16:                              ;   in Loop: Header=BB42_20 Depth=2
	s_or_b64 exec, exec, s[42:43]
	s_orn2_b64 s[42:43], s[48:49], exec
	s_orn2_b64 s[44:45], s[44:45], exec
.LBB42_17:                              ;   in Loop: Header=BB42_20 Depth=2
	s_or_b64 exec, exec, s[40:41]
	s_and_b64 s[42:43], s[42:43], exec
	s_orn2_b64 s[40:41], s[44:45], exec
.LBB42_18:                              ;   in Loop: Header=BB42_20 Depth=2
	s_or_b64 exec, exec, s[38:39]
	s_andn2_b64 s[30:31], s[30:31], exec
	s_and_b64 s[38:39], s[42:43], exec
	s_or_b64 s[30:31], s[30:31], s[38:39]
	s_andn2_b64 s[28:29], s[28:29], exec
	s_and_b64 s[38:39], s[40:41], exec
	s_or_b64 s[28:29], s[28:29], s[38:39]
.LBB42_19:                              ;   in Loop: Header=BB42_20 Depth=2
	s_or_b64 exec, exec, s[36:37]
	s_and_b64 s[36:37], exec, s[28:29]
	s_or_b64 s[26:27], s[36:37], s[26:27]
	s_andn2_b64 s[18:19], s[18:19], exec
	s_and_b64 s[36:37], s[30:31], exec
	s_or_b64 s[18:19], s[18:19], s[36:37]
	s_andn2_b64 exec, exec, s[26:27]
	s_cbranch_execz .LBB42_29
.LBB42_20:                              ;   Parent Loop BB42_11 Depth=1
                                        ; =>  This Inner Loop Header: Depth=2
	v_and_b32_e32 v5, 0x7f, v6
	v_lshl_add_u32 v7, v5, 2, v15
	ds_read_b32 v8, v7
	s_or_b64 s[30:31], s[30:31], exec
	s_or_b64 s[28:29], s[28:29], exec
	s_waitcnt lgkmcnt(0)
	v_cmp_ne_u32_e32 vcc, v8, v1
	s_and_saveexec_b64 s[36:37], vcc
	s_cbranch_execz .LBB42_19
; %bb.21:                               ;   in Loop: Header=BB42_20 Depth=2
	ds_cmpst_rtn_b32 v7, v7, v3, v1
	s_mov_b64 s[40:41], -1
	s_mov_b64 s[42:43], 0
	s_waitcnt lgkmcnt(0)
	v_cmp_ne_u32_e32 vcc, -1, v7
	s_and_saveexec_b64 s[38:39], vcc
	s_cbranch_execz .LBB42_18
; %bb.22:                               ;   in Loop: Header=BB42_20 Depth=2
	v_add_u32_e32 v5, 1, v6
	v_and_b32_e32 v5, 0x7f, v5
	v_lshl_add_u32 v7, v5, 2, v15
	ds_read_b32 v8, v7
	s_mov_b64 s[44:45], -1
	s_mov_b64 s[42:43], -1
	s_waitcnt lgkmcnt(0)
	v_cmp_ne_u32_e32 vcc, v8, v1
	s_and_saveexec_b64 s[40:41], vcc
	s_cbranch_execz .LBB42_17
; %bb.23:                               ;   in Loop: Header=BB42_20 Depth=2
	ds_cmpst_rtn_b32 v7, v7, v3, v1
	s_mov_b64 s[48:49], 0
	s_waitcnt lgkmcnt(0)
	v_cmp_ne_u32_e32 vcc, -1, v7
	s_and_saveexec_b64 s[42:43], vcc
	s_cbranch_execz .LBB42_16
; %bb.24:                               ;   in Loop: Header=BB42_20 Depth=2
	v_add_u32_e32 v5, 2, v6
	v_and_b32_e32 v5, 0x7f, v5
	v_lshl_add_u32 v7, v5, 2, v15
	ds_read_b32 v8, v7
	s_mov_b64 s[46:47], -1
	s_mov_b64 s[50:51], -1
	s_waitcnt lgkmcnt(0)
	v_cmp_ne_u32_e32 vcc, v8, v1
	s_and_saveexec_b64 s[44:45], vcc
	s_cbranch_execz .LBB42_15
; %bb.25:                               ;   in Loop: Header=BB42_20 Depth=2
	ds_cmpst_rtn_b32 v7, v7, v3, v1
	s_mov_b64 s[48:49], -1
	s_mov_b64 s[50:51], 0
	s_waitcnt lgkmcnt(0)
	v_cmp_ne_u32_e32 vcc, -1, v7
	s_and_saveexec_b64 s[46:47], vcc
	s_cbranch_execz .LBB42_14
; %bb.26:                               ;   in Loop: Header=BB42_20 Depth=2
	v_add_u32_e32 v5, 3, v6
	v_and_b32_e32 v5, 0x7f, v5
	v_lshl_add_u32 v7, v5, 2, v15
	ds_read_b32 v6, v7
	s_mov_b64 s[52:53], -1
	s_mov_b64 s[50:51], -1
	s_waitcnt lgkmcnt(0)
	v_cmp_ne_u32_e32 vcc, v6, v1
                                        ; implicit-def: $vgpr6
	s_and_saveexec_b64 s[48:49], vcc
	s_cbranch_execz .LBB42_13
; %bb.27:                               ;   in Loop: Header=BB42_20 Depth=2
	ds_cmpst_rtn_b32 v6, v7, v3, v1
	s_mov_b64 s[50:51], 0
	s_waitcnt lgkmcnt(0)
	v_cmp_ne_u32_e32 vcc, -1, v6
                                        ; implicit-def: $vgpr6
	s_and_saveexec_b64 s[54:55], vcc
	s_cbranch_execz .LBB42_12
; %bb.28:                               ;   in Loop: Header=BB42_20 Depth=2
	v_add_u32_e32 v4, -4, v4
	v_cmp_eq_u32_e32 vcc, 0, v4
	s_mov_b64 s[50:51], exec
	v_add_u32_e32 v6, 1, v5
	s_orn2_b64 s[52:53], vcc, exec
	s_branch .LBB42_12
.LBB42_29:                              ;   in Loop: Header=BB42_11 Depth=1
	s_or_b64 exec, exec, s[26:27]
	s_xor_b64 s[18:19], s[18:19], -1
	s_and_saveexec_b64 s[26:27], s[18:19]
	s_xor_b64 s[18:19], exec, s[26:27]
	s_cbranch_execz .LBB42_10
; %bb.30:                               ;   in Loop: Header=BB42_11 Depth=1
	v_lshl_add_u32 v1, v5, 2, v24
	ds_write_b32 v1, v0
	s_branch .LBB42_10
.LBB42_31:
	s_or_b64 exec, exec, s[2:3]
	s_waitcnt vmcnt(0)
	v_cmp_lt_i32_e32 vcc, v16, v14
	s_waitcnt lgkmcnt(0)
	s_and_saveexec_b64 s[4:5], vcc
	s_cbranch_execz .LBB42_61
; %bb.32:
	v_add_u32_e32 v25, 1, v22
	s_mov_b64 s[18:19], 0
	s_movk_i32 s33, 0x67
	s_branch .LBB42_35
.LBB42_33:                              ;   in Loop: Header=BB42_35 Depth=1
	s_or_b64 exec, exec, s[26:27]
	v_add_u32_e32 v16, 1, v16
	v_cmp_ge_i32_e32 vcc, v16, v14
	s_orn2_b64 s[26:27], vcc, exec
.LBB42_34:                              ;   in Loop: Header=BB42_35 Depth=1
	s_or_b64 exec, exec, s[2:3]
	s_and_b64 s[2:3], exec, s[26:27]
	s_or_b64 s[18:19], s[2:3], s[18:19]
	s_andn2_b64 exec, exec, s[18:19]
	s_cbranch_execz .LBB42_61
.LBB42_35:                              ; =>This Loop Header: Depth=1
                                        ;     Child Loop BB42_36 Depth 2
                                        ;     Child Loop BB42_41 Depth 2
                                        ;       Child Loop BB42_50 Depth 3
	v_ashrrev_i32_e32 v17, 31, v16
	v_lshl_add_u64 v[0:1], v[16:17], 2, s[10:11]
	global_load_dword v0, v[0:1], off
	v_lshl_add_u64 v[18:19], v[16:17], 4, s[12:13]
	global_load_dwordx4 v[2:5], v[18:19], off
	s_mov_b64 s[2:3], 0
	s_waitcnt vmcnt(1)
	v_subrev_u32_e32 v0, s34, v0
	v_ashrrev_i32_e32 v1, 31, v0
	v_lshlrev_b64 v[0:1], 2, v[0:1]
	v_lshl_add_u64 v[8:9], s[8:9], 0, v[0:1]
	v_lshl_add_u64 v[20:21], s[14:15], 0, v[0:1]
	global_load_dword v7, v[8:9], off offset:4
	global_load_dword v6, v[20:21], off
	v_lshl_add_u64 v[0:1], s[16:17], 0, v[0:1]
.LBB42_36:                              ;   Parent Loop BB42_35 Depth=1
                                        ; =>  This Inner Loop Header: Depth=2
	global_load_dword v8, v[0:1], off sc1
	s_waitcnt vmcnt(0)
	v_cmp_ne_u32_e32 vcc, 0, v8
	s_or_b64 s[2:3], vcc, s[2:3]
	s_andn2_b64 exec, exec, s[2:3]
	s_cbranch_execnz .LBB42_36
; %bb.37:                               ;   in Loop: Header=BB42_35 Depth=1
	s_or_b64 exec, exec, s[2:3]
	v_subrev_u32_e32 v17, s34, v7
	v_add_u32_e32 v0, -1, v17
	v_cmp_eq_u32_e32 vcc, -1, v6
	buffer_inv sc1
	s_mov_b64 s[26:27], -1
	v_cndmask_b32_e32 v20, v6, v0, vcc
	v_ashrrev_i32_e32 v21, 31, v20
	v_lshl_add_u64 v[0:1], v[20:21], 4, s[12:13]
	global_load_dwordx4 v[6:9], v[0:1], off
	s_waitcnt vmcnt(0)
	v_cmp_neq_f64_e32 vcc, 0, v[6:7]
	v_cmp_neq_f64_e64 s[2:3], 0, v[8:9]
	s_or_b64 s[28:29], vcc, s[2:3]
	s_and_saveexec_b64 s[2:3], s[28:29]
	s_cbranch_execz .LBB42_34
; %bb.38:                               ;   in Loop: Header=BB42_35 Depth=1
	v_mul_f64 v[0:1], v[8:9], v[8:9]
	v_fmac_f64_e32 v[0:1], v[6:7], v[6:7]
	v_div_scale_f64 v[30:31], s[26:27], v[0:1], v[0:1], 1.0
	v_rcp_f64_e32 v[32:33], v[30:31]
	v_div_scale_f64 v[34:35], vcc, 1.0, v[0:1], 1.0
	v_fma_f64 v[36:37], -v[30:31], v[32:33], 1.0
	v_fmac_f64_e32 v[32:33], v[32:33], v[36:37]
	v_fma_f64 v[36:37], -v[30:31], v[32:33], 1.0
	v_fmac_f64_e32 v[32:33], v[32:33], v[36:37]
	v_mul_f64 v[36:37], v[34:35], v[32:33]
	v_fma_f64 v[30:31], -v[30:31], v[36:37], v[34:35]
	v_div_fmas_f64 v[30:31], v[30:31], v[32:33], v[36:37]
	v_div_fixup_f64 v[30:31], v[30:31], v[0:1], 1.0
	v_mul_f64 v[0:1], v[4:5], v[8:9]
	v_fmac_f64_e32 v[0:1], v[2:3], v[6:7]
	v_mul_f64 v[2:3], v[8:9], -v[2:3]
	v_fmac_f64_e32 v[2:3], v[4:5], v[6:7]
	v_add_u32_e32 v4, v25, v20
	v_mul_f64 v[0:1], v[0:1], v[30:31]
	v_mul_f64 v[2:3], v[2:3], v[30:31]
	v_cmp_lt_i32_e32 vcc, v4, v17
	global_store_dwordx4 v[18:19], v[0:3], off
	s_and_saveexec_b64 s[26:27], vcc
	s_cbranch_execz .LBB42_33
; %bb.39:                               ;   in Loop: Header=BB42_35 Depth=1
	s_mov_b64 s[28:29], 0
	s_branch .LBB42_41
.LBB42_40:                              ;   in Loop: Header=BB42_41 Depth=2
	s_or_b64 exec, exec, s[30:31]
	v_add_u32_e32 v4, 32, v4
	v_cmp_ge_i32_e32 vcc, v4, v17
	s_or_b64 s[28:29], vcc, s[28:29]
	s_andn2_b64 exec, exec, s[28:29]
	s_cbranch_execz .LBB42_33
.LBB42_41:                              ;   Parent Loop BB42_35 Depth=1
                                        ; =>  This Loop Header: Depth=2
                                        ;       Child Loop BB42_50 Depth 3
	v_ashrrev_i32_e32 v5, 31, v4
	v_lshl_add_u64 v[6:7], v[4:5], 2, s[10:11]
	global_load_dword v6, v[6:7], off
	v_mov_b32_e32 v7, 0x80
	s_mov_b64 s[36:37], 0
                                        ; implicit-def: $sgpr30_sgpr31
                                        ; implicit-def: $sgpr38_sgpr39
                                        ; implicit-def: $sgpr40_sgpr41
	s_waitcnt vmcnt(0)
	v_mul_lo_u32 v9, v6, s33
	s_branch .LBB42_50
.LBB42_42:                              ;   in Loop: Header=BB42_50 Depth=3
	s_or_b64 exec, exec, s[60:61]
	s_orn2_b64 s[56:57], s[56:57], exec
	s_orn2_b64 s[58:59], s[58:59], exec
.LBB42_43:                              ;   in Loop: Header=BB42_50 Depth=3
	s_or_b64 exec, exec, s[54:55]
	s_and_b64 s[56:57], s[56:57], exec
	s_orn2_b64 s[54:55], s[58:59], exec
.LBB42_44:                              ;   in Loop: Header=BB42_50 Depth=3
	s_or_b64 exec, exec, s[52:53]
	s_orn2_b64 s[56:57], s[56:57], exec
	s_orn2_b64 s[52:53], s[54:55], exec
.LBB42_45:                              ;   in Loop: Header=BB42_50 Depth=3
	s_or_b64 exec, exec, s[50:51]
	s_and_b64 s[54:55], s[56:57], exec
	s_orn2_b64 s[50:51], s[52:53], exec
.LBB42_46:                              ;   in Loop: Header=BB42_50 Depth=3
	s_or_b64 exec, exec, s[48:49]
	s_orn2_b64 s[48:49], s[54:55], exec
	s_orn2_b64 s[50:51], s[50:51], exec
.LBB42_47:                              ;   in Loop: Header=BB42_50 Depth=3
	s_or_b64 exec, exec, s[46:47]
	s_and_b64 s[48:49], s[48:49], exec
	s_orn2_b64 s[46:47], s[50:51], exec
.LBB42_48:                              ;   in Loop: Header=BB42_50 Depth=3
	s_or_b64 exec, exec, s[44:45]
	s_andn2_b64 s[40:41], s[40:41], exec
	s_and_b64 s[44:45], s[48:49], exec
	s_or_b64 s[40:41], s[40:41], s[44:45]
	s_andn2_b64 s[38:39], s[38:39], exec
	s_and_b64 s[44:45], s[46:47], exec
	s_or_b64 s[38:39], s[38:39], s[44:45]
.LBB42_49:                              ;   in Loop: Header=BB42_50 Depth=3
	s_or_b64 exec, exec, s[42:43]
	s_and_b64 s[42:43], exec, s[38:39]
	s_or_b64 s[36:37], s[42:43], s[36:37]
	s_andn2_b64 s[30:31], s[30:31], exec
	s_and_b64 s[42:43], s[40:41], exec
	s_or_b64 s[30:31], s[30:31], s[42:43]
	s_andn2_b64 exec, exec, s[36:37]
	s_cbranch_execz .LBB42_59
.LBB42_50:                              ;   Parent Loop BB42_35 Depth=1
                                        ;     Parent Loop BB42_41 Depth=2
                                        ; =>    This Inner Loop Header: Depth=3
	v_and_b32_e32 v8, 0x7f, v9
	v_lshl_add_u32 v18, v8, 2, v15
	ds_read_b32 v18, v18
	s_or_b64 s[40:41], s[40:41], exec
	s_or_b64 s[38:39], s[38:39], exec
	s_waitcnt lgkmcnt(0)
	v_cmp_ne_u32_e32 vcc, -1, v18
	s_and_saveexec_b64 s[42:43], vcc
	s_cbranch_execz .LBB42_49
; %bb.51:                               ;   in Loop: Header=BB42_50 Depth=3
	v_cmp_ne_u32_e32 vcc, v18, v6
	s_mov_b64 s[46:47], -1
	s_mov_b64 s[48:49], 0
	s_and_saveexec_b64 s[44:45], vcc
	s_cbranch_execz .LBB42_48
; %bb.52:                               ;   in Loop: Header=BB42_50 Depth=3
	v_add_u32_e32 v8, 1, v9
	v_and_b32_e32 v8, 0x7f, v8
	v_lshl_add_u32 v18, v8, 2, v15
	ds_read_b32 v18, v18
	s_mov_b64 s[50:51], -1
	s_mov_b64 s[48:49], -1
	s_waitcnt lgkmcnt(0)
	v_cmp_ne_u32_e32 vcc, -1, v18
	s_and_saveexec_b64 s[46:47], vcc
	s_cbranch_execz .LBB42_47
; %bb.53:                               ;   in Loop: Header=BB42_50 Depth=3
	v_cmp_ne_u32_e32 vcc, v18, v6
	s_mov_b64 s[54:55], 0
	s_and_saveexec_b64 s[48:49], vcc
	s_cbranch_execz .LBB42_46
; %bb.54:                               ;   in Loop: Header=BB42_50 Depth=3
	v_add_u32_e32 v8, 2, v9
	v_and_b32_e32 v8, 0x7f, v8
	v_lshl_add_u32 v18, v8, 2, v15
	ds_read_b32 v18, v18
	s_mov_b64 s[52:53], -1
	s_mov_b64 s[56:57], -1
	s_waitcnt lgkmcnt(0)
	v_cmp_ne_u32_e32 vcc, -1, v18
	s_and_saveexec_b64 s[50:51], vcc
	s_cbranch_execz .LBB42_45
; %bb.55:                               ;   in Loop: Header=BB42_50 Depth=3
	v_cmp_ne_u32_e32 vcc, v18, v6
	s_mov_b64 s[54:55], -1
	s_mov_b64 s[56:57], 0
	s_and_saveexec_b64 s[52:53], vcc
	s_cbranch_execz .LBB42_44
; %bb.56:                               ;   in Loop: Header=BB42_50 Depth=3
	v_add_u32_e32 v8, 3, v9
	v_and_b32_e32 v8, 0x7f, v8
	v_lshl_add_u32 v9, v8, 2, v15
	ds_read_b32 v18, v9
	s_mov_b64 s[58:59], -1
	s_mov_b64 s[56:57], -1
                                        ; implicit-def: $vgpr9
	s_waitcnt lgkmcnt(0)
	v_cmp_ne_u32_e32 vcc, -1, v18
	s_and_saveexec_b64 s[54:55], vcc
	s_cbranch_execz .LBB42_43
; %bb.57:                               ;   in Loop: Header=BB42_50 Depth=3
	v_cmp_ne_u32_e32 vcc, v18, v6
	s_mov_b64 s[56:57], 0
                                        ; implicit-def: $vgpr9
	s_and_saveexec_b64 s[60:61], vcc
	s_cbranch_execz .LBB42_42
; %bb.58:                               ;   in Loop: Header=BB42_50 Depth=3
	v_add_u32_e32 v7, -4, v7
	v_cmp_eq_u32_e32 vcc, 0, v7
	s_mov_b64 s[56:57], exec
	v_add_u32_e32 v9, 1, v8
	s_orn2_b64 s[58:59], vcc, exec
	s_branch .LBB42_42
.LBB42_59:                              ;   in Loop: Header=BB42_41 Depth=2
	s_or_b64 exec, exec, s[36:37]
	s_xor_b64 s[30:31], s[30:31], -1
	s_and_saveexec_b64 s[36:37], s[30:31]
	s_xor_b64 s[30:31], exec, s[36:37]
	s_cbranch_execz .LBB42_40
; %bb.60:                               ;   in Loop: Header=BB42_41 Depth=2
	v_lshl_add_u32 v6, v8, 2, v24
	ds_read_b32 v6, v6
	v_lshl_add_u64 v[30:31], v[4:5], 4, s[12:13]
	s_waitcnt lgkmcnt(0)
	v_ashrrev_i32_e32 v7, 31, v6
	v_lshl_add_u64 v[32:33], v[6:7], 4, s[12:13]
	global_load_dwordx4 v[6:9], v[30:31], off
	global_load_dwordx4 v[18:21], v[32:33], off
	s_waitcnt vmcnt(0)
	v_fma_f64 v[18:19], -v[0:1], v[6:7], v[18:19]
	v_fma_f64 v[6:7], -v[2:3], v[6:7], v[20:21]
	v_fmac_f64_e32 v[18:19], v[2:3], v[8:9]
	v_fma_f64 v[20:21], -v[0:1], v[8:9], v[6:7]
	global_store_dwordx4 v[32:33], v[18:21], off
	s_branch .LBB42_40
.LBB42_61:
	s_or_b64 exec, exec, s[4:5]
	v_cmp_lt_i32_e32 vcc, -1, v14
	s_and_saveexec_b64 s[2:3], vcc
	s_cbranch_execz .LBB42_83
; %bb.62:
	v_mov_b32_e32 v15, 0
	v_lshl_add_u64 v[4:5], v[14:15], 4, s[12:13]
	global_load_dwordx4 v[0:3], v[4:5], off
                                        ; implicit-def: $vgpr14_vgpr15
	s_waitcnt vmcnt(0)
	v_xor_b32_e32 v7, 0x80000000, v1
	v_cmp_gt_f64_e32 vcc, 0, v[0:1]
	v_xor_b32_e32 v8, 0x80000000, v3
	v_mov_b32_e32 v6, v0
	v_cndmask_b32_e32 v7, v1, v7, vcc
	v_cmp_gt_f64_e32 vcc, 0, v[2:3]
	s_nop 1
	v_cndmask_b32_e32 v9, v3, v8, vcc
	v_mov_b32_e32 v8, v2
	v_cmp_ngt_f64_e32 vcc, v[6:7], v[8:9]
	s_and_saveexec_b64 s[4:5], vcc
	s_xor_b64 s[4:5], exec, s[4:5]
	s_cbranch_execz .LBB42_66
; %bb.63:
	v_mov_b64_e32 v[14:15], 0
	v_cmp_neq_f64_e32 vcc, 0, v[2:3]
	s_and_saveexec_b64 s[8:9], vcc
	s_cbranch_execz .LBB42_65
; %bb.64:
	v_div_scale_f64 v[14:15], s[10:11], v[8:9], v[8:9], v[6:7]
	v_rcp_f64_e32 v[16:17], v[14:15]
	v_div_scale_f64 v[18:19], vcc, v[6:7], v[8:9], v[6:7]
	s_mov_b32 s10, 0
	v_fma_f64 v[20:21], -v[14:15], v[16:17], 1.0
	v_fmac_f64_e32 v[16:17], v[16:17], v[20:21]
	v_fma_f64 v[20:21], -v[14:15], v[16:17], 1.0
	v_fmac_f64_e32 v[16:17], v[16:17], v[20:21]
	v_mul_f64 v[20:21], v[18:19], v[16:17]
	v_fma_f64 v[14:15], -v[14:15], v[20:21], v[18:19]
	v_div_fmas_f64 v[14:15], v[14:15], v[16:17], v[20:21]
	v_div_fixup_f64 v[6:7], v[14:15], v[8:9], v[6:7]
	v_fma_f64 v[6:7], v[6:7], v[6:7], 1.0
	s_brev_b32 s11, 8
	v_mov_b32_e32 v14, 0x100
	v_cmp_gt_f64_e32 vcc, s[10:11], v[6:7]
	s_nop 1
	v_cndmask_b32_e32 v14, 0, v14, vcc
	v_ldexp_f64 v[6:7], v[6:7], v14
	v_rsq_f64_e32 v[14:15], v[6:7]
	s_nop 0
	v_mul_f64 v[16:17], v[6:7], v[14:15]
	v_mul_f64 v[14:15], v[14:15], 0.5
	v_fma_f64 v[18:19], -v[14:15], v[16:17], 0.5
	v_fmac_f64_e32 v[16:17], v[16:17], v[18:19]
	v_fma_f64 v[20:21], -v[16:17], v[16:17], v[6:7]
	v_fmac_f64_e32 v[14:15], v[14:15], v[18:19]
	v_fmac_f64_e32 v[16:17], v[20:21], v[14:15]
	v_fma_f64 v[18:19], -v[16:17], v[16:17], v[6:7]
	v_fmac_f64_e32 v[16:17], v[18:19], v[14:15]
	v_mov_b32_e32 v14, 0xffffff80
	v_cndmask_b32_e32 v14, 0, v14, vcc
	v_ldexp_f64 v[14:15], v[16:17], v14
	v_mov_b32_e32 v16, 0x260
	v_cmp_class_f64_e32 vcc, v[6:7], v16
	s_nop 1
	v_cndmask_b32_e32 v7, v15, v7, vcc
	v_cndmask_b32_e32 v6, v14, v6, vcc
	v_mul_f64 v[14:15], v[8:9], v[6:7]
.LBB42_65:
	s_or_b64 exec, exec, s[8:9]
                                        ; implicit-def: $vgpr6_vgpr7
                                        ; implicit-def: $vgpr8_vgpr9
.LBB42_66:
	s_andn2_saveexec_b64 s[4:5], s[4:5]
	s_cbranch_execz .LBB42_68
; %bb.67:
	v_div_scale_f64 v[14:15], s[8:9], v[6:7], v[6:7], v[8:9]
	v_rcp_f64_e32 v[16:17], v[14:15]
	v_div_scale_f64 v[18:19], vcc, v[8:9], v[6:7], v[8:9]
	s_mov_b32 s8, 0
	v_fma_f64 v[20:21], -v[14:15], v[16:17], 1.0
	v_fmac_f64_e32 v[16:17], v[16:17], v[20:21]
	v_fma_f64 v[20:21], -v[14:15], v[16:17], 1.0
	v_fmac_f64_e32 v[16:17], v[16:17], v[20:21]
	v_mul_f64 v[20:21], v[18:19], v[16:17]
	v_fma_f64 v[14:15], -v[14:15], v[20:21], v[18:19]
	v_div_fmas_f64 v[14:15], v[14:15], v[16:17], v[20:21]
	v_div_fixup_f64 v[8:9], v[14:15], v[6:7], v[8:9]
	v_fma_f64 v[8:9], v[8:9], v[8:9], 1.0
	s_brev_b32 s9, 8
	v_mov_b32_e32 v14, 0x100
	v_cmp_gt_f64_e32 vcc, s[8:9], v[8:9]
	s_nop 1
	v_cndmask_b32_e32 v14, 0, v14, vcc
	v_ldexp_f64 v[8:9], v[8:9], v14
	v_rsq_f64_e32 v[14:15], v[8:9]
	s_nop 0
	v_mul_f64 v[16:17], v[8:9], v[14:15]
	v_mul_f64 v[14:15], v[14:15], 0.5
	v_fma_f64 v[18:19], -v[14:15], v[16:17], 0.5
	v_fmac_f64_e32 v[16:17], v[16:17], v[18:19]
	v_fma_f64 v[20:21], -v[16:17], v[16:17], v[8:9]
	v_fmac_f64_e32 v[14:15], v[14:15], v[18:19]
	v_fmac_f64_e32 v[16:17], v[20:21], v[14:15]
	v_fma_f64 v[18:19], -v[16:17], v[16:17], v[8:9]
	v_fmac_f64_e32 v[16:17], v[18:19], v[14:15]
	v_mov_b32_e32 v14, 0xffffff80
	v_cndmask_b32_e32 v14, 0, v14, vcc
	v_ldexp_f64 v[14:15], v[16:17], v14
	v_mov_b32_e32 v16, 0x260
	v_cmp_class_f64_e32 vcc, v[8:9], v16
	s_nop 1
	v_cndmask_b32_e32 v9, v15, v9, vcc
	v_cndmask_b32_e32 v8, v14, v8, vcc
	v_mul_f64 v[14:15], v[6:7], v[8:9]
.LBB42_68:
	s_or_b64 exec, exec, s[4:5]
	v_cmp_eq_u32_e64 s[4:5], 0, v22
	s_and_b64 vcc, exec, s[6:7]
	s_mov_b64 s[6:7], -1
	s_cbranch_vccnz .LBB42_72
; %bb.69:
	s_cmp_eq_u64 s[24:25], 8
	v_cvt_f64_f32_e32 v[6:7], v23
	s_cselect_b64 vcc, -1, 0
	v_cndmask_b32_e32 v7, v7, v13, vcc
	v_cndmask_b32_e32 v6, v6, v12, vcc
	v_cmp_le_f64_e32 vcc, v[14:15], v[6:7]
	s_and_b64 s[8:9], s[4:5], vcc
	s_and_saveexec_b64 s[6:7], s[8:9]
	s_cbranch_execz .LBB42_71
; %bb.70:
	global_store_dwordx4 v[4:5], v[26:29], off
	buffer_wbl2 sc1
	s_waitcnt vmcnt(0)
	buffer_inv sc1
.LBB42_71:
	s_or_b64 exec, exec, s[6:7]
	s_mov_b64 s[6:7], 0
.LBB42_72:
	s_andn2_b64 vcc, exec, s[6:7]
	s_cbranch_vccnz .LBB42_83
; %bb.73:
	s_load_dwordx2 s[0:1], s[0:1], 0x48
	v_add_u32_e32 v4, s34, v10
	s_waitcnt lgkmcnt(0)
	v_cmp_ge_f64_e32 vcc, s[0:1], v[14:15]
	s_and_b64 s[6:7], s[4:5], vcc
	s_and_saveexec_b64 s[0:1], s[6:7]
	s_cbranch_execz .LBB42_78
; %bb.74:
	s_mov_b64 s[6:7], exec
	s_brev_b32 s8, -2
.LBB42_75:                              ; =>This Inner Loop Header: Depth=1
	s_ff1_i32_b64 s9, s[6:7]
	v_readlane_b32 s12, v4, s9
	s_lshl_b64 s[10:11], 1, s9
	s_min_i32 s8, s8, s12
	s_andn2_b64 s[6:7], s[6:7], s[10:11]
	s_cmp_lg_u64 s[6:7], 0
	s_cbranch_scc1 .LBB42_75
; %bb.76:
	v_mbcnt_lo_u32_b32 v5, exec_lo, 0
	v_mbcnt_hi_u32_b32 v5, exec_hi, v5
	v_cmp_eq_u32_e32 vcc, 0, v5
	s_and_saveexec_b64 s[6:7], vcc
	s_xor_b64 s[6:7], exec, s[6:7]
	s_cbranch_execz .LBB42_78
; %bb.77:
	v_mov_b32_e32 v5, 0
	v_mov_b32_e32 v6, s8
	global_atomic_smin v5, v6, s[22:23]
.LBB42_78:
	s_or_b64 exec, exec, s[0:1]
	v_cmp_eq_f64_e32 vcc, 0, v[0:1]
	v_cmp_eq_f64_e64 s[0:1], 0, v[2:3]
	s_and_b64 s[0:1], vcc, s[0:1]
	s_and_b64 s[0:1], s[4:5], s[0:1]
	s_and_b64 exec, exec, s[0:1]
	s_cbranch_execz .LBB42_83
; %bb.79:
	s_mov_b64 s[0:1], exec
	s_brev_b32 s4, -2
.LBB42_80:                              ; =>This Inner Loop Header: Depth=1
	s_ff1_i32_b64 s5, s[0:1]
	v_readlane_b32 s8, v4, s5
	s_lshl_b64 s[6:7], 1, s5
	s_min_i32 s4, s4, s8
	s_andn2_b64 s[0:1], s[0:1], s[6:7]
	s_cmp_lg_u64 s[0:1], 0
	s_cbranch_scc1 .LBB42_80
; %bb.81:
	v_mbcnt_lo_u32_b32 v0, exec_lo, 0
	v_mbcnt_hi_u32_b32 v0, exec_hi, v0
	v_cmp_eq_u32_e32 vcc, 0, v0
	s_and_saveexec_b64 s[0:1], vcc
	s_xor_b64 s[0:1], exec, s[0:1]
	s_cbranch_execz .LBB42_83
; %bb.82:
	v_mov_b32_e32 v0, 0
	v_mov_b32_e32 v1, s4
	global_atomic_smin v0, v1, s[20:21]
.LBB42_83:
	s_or_b64 exec, exec, s[2:3]
	v_cmp_eq_u32_e32 vcc, 0, v22
	buffer_wbl2 sc1
	s_waitcnt vmcnt(0)
	buffer_inv sc1
	s_and_b64 exec, exec, vcc
	s_cbranch_execz .LBB42_85
; %bb.84:
	v_lshl_add_u64 v[0:1], v[10:11], 2, s[16:17]
	v_mov_b32_e32 v2, 1
	buffer_wbl2 sc1
	global_store_dword v[0:1], v2, off sc1
.LBB42_85:
	s_endpgm
	.section	.rodata,"a",@progbits
	.p2align	6, 0x0
	.amdhsa_kernel _ZN9rocsparseL12csrilu0_hashILj256ELj32ELj4E21rocsparse_complex_numIdEEEviPKiS4_PT2_S4_PiS4_S7_S7_d21rocsparse_index_base_imNS_24const_host_device_scalarIfEENS9_IdEENS9_IS5_EEb
		.amdhsa_group_segment_fixed_size 8192
		.amdhsa_private_segment_fixed_size 16
		.amdhsa_kernarg_size 132
		.amdhsa_user_sgpr_count 2
		.amdhsa_user_sgpr_dispatch_ptr 0
		.amdhsa_user_sgpr_queue_ptr 0
		.amdhsa_user_sgpr_kernarg_segment_ptr 1
		.amdhsa_user_sgpr_dispatch_id 0
		.amdhsa_user_sgpr_kernarg_preload_length 0
		.amdhsa_user_sgpr_kernarg_preload_offset 0
		.amdhsa_user_sgpr_private_segment_size 0
		.amdhsa_uses_dynamic_stack 0
		.amdhsa_enable_private_segment 1
		.amdhsa_system_sgpr_workgroup_id_x 1
		.amdhsa_system_sgpr_workgroup_id_y 0
		.amdhsa_system_sgpr_workgroup_id_z 0
		.amdhsa_system_sgpr_workgroup_info 0
		.amdhsa_system_vgpr_workitem_id 0
		.amdhsa_next_free_vgpr 38
		.amdhsa_next_free_sgpr 62
		.amdhsa_accum_offset 40
		.amdhsa_reserve_vcc 1
		.amdhsa_float_round_mode_32 0
		.amdhsa_float_round_mode_16_64 0
		.amdhsa_float_denorm_mode_32 3
		.amdhsa_float_denorm_mode_16_64 3
		.amdhsa_dx10_clamp 1
		.amdhsa_ieee_mode 1
		.amdhsa_fp16_overflow 0
		.amdhsa_tg_split 0
		.amdhsa_exception_fp_ieee_invalid_op 0
		.amdhsa_exception_fp_denorm_src 0
		.amdhsa_exception_fp_ieee_div_zero 0
		.amdhsa_exception_fp_ieee_overflow 0
		.amdhsa_exception_fp_ieee_underflow 0
		.amdhsa_exception_fp_ieee_inexact 0
		.amdhsa_exception_int_div_zero 0
	.end_amdhsa_kernel
	.section	.text._ZN9rocsparseL12csrilu0_hashILj256ELj32ELj4E21rocsparse_complex_numIdEEEviPKiS4_PT2_S4_PiS4_S7_S7_d21rocsparse_index_base_imNS_24const_host_device_scalarIfEENS9_IdEENS9_IS5_EEb,"axG",@progbits,_ZN9rocsparseL12csrilu0_hashILj256ELj32ELj4E21rocsparse_complex_numIdEEEviPKiS4_PT2_S4_PiS4_S7_S7_d21rocsparse_index_base_imNS_24const_host_device_scalarIfEENS9_IdEENS9_IS5_EEb,comdat
.Lfunc_end42:
	.size	_ZN9rocsparseL12csrilu0_hashILj256ELj32ELj4E21rocsparse_complex_numIdEEEviPKiS4_PT2_S4_PiS4_S7_S7_d21rocsparse_index_base_imNS_24const_host_device_scalarIfEENS9_IdEENS9_IS5_EEb, .Lfunc_end42-_ZN9rocsparseL12csrilu0_hashILj256ELj32ELj4E21rocsparse_complex_numIdEEEviPKiS4_PT2_S4_PiS4_S7_S7_d21rocsparse_index_base_imNS_24const_host_device_scalarIfEENS9_IdEENS9_IS5_EEb
                                        ; -- End function
	.set _ZN9rocsparseL12csrilu0_hashILj256ELj32ELj4E21rocsparse_complex_numIdEEEviPKiS4_PT2_S4_PiS4_S7_S7_d21rocsparse_index_base_imNS_24const_host_device_scalarIfEENS9_IdEENS9_IS5_EEb.num_vgpr, 38
	.set _ZN9rocsparseL12csrilu0_hashILj256ELj32ELj4E21rocsparse_complex_numIdEEEviPKiS4_PT2_S4_PiS4_S7_S7_d21rocsparse_index_base_imNS_24const_host_device_scalarIfEENS9_IdEENS9_IS5_EEb.num_agpr, 0
	.set _ZN9rocsparseL12csrilu0_hashILj256ELj32ELj4E21rocsparse_complex_numIdEEEviPKiS4_PT2_S4_PiS4_S7_S7_d21rocsparse_index_base_imNS_24const_host_device_scalarIfEENS9_IdEENS9_IS5_EEb.numbered_sgpr, 62
	.set _ZN9rocsparseL12csrilu0_hashILj256ELj32ELj4E21rocsparse_complex_numIdEEEviPKiS4_PT2_S4_PiS4_S7_S7_d21rocsparse_index_base_imNS_24const_host_device_scalarIfEENS9_IdEENS9_IS5_EEb.num_named_barrier, 0
	.set _ZN9rocsparseL12csrilu0_hashILj256ELj32ELj4E21rocsparse_complex_numIdEEEviPKiS4_PT2_S4_PiS4_S7_S7_d21rocsparse_index_base_imNS_24const_host_device_scalarIfEENS9_IdEENS9_IS5_EEb.private_seg_size, 16
	.set _ZN9rocsparseL12csrilu0_hashILj256ELj32ELj4E21rocsparse_complex_numIdEEEviPKiS4_PT2_S4_PiS4_S7_S7_d21rocsparse_index_base_imNS_24const_host_device_scalarIfEENS9_IdEENS9_IS5_EEb.uses_vcc, 1
	.set _ZN9rocsparseL12csrilu0_hashILj256ELj32ELj4E21rocsparse_complex_numIdEEEviPKiS4_PT2_S4_PiS4_S7_S7_d21rocsparse_index_base_imNS_24const_host_device_scalarIfEENS9_IdEENS9_IS5_EEb.uses_flat_scratch, 0
	.set _ZN9rocsparseL12csrilu0_hashILj256ELj32ELj4E21rocsparse_complex_numIdEEEviPKiS4_PT2_S4_PiS4_S7_S7_d21rocsparse_index_base_imNS_24const_host_device_scalarIfEENS9_IdEENS9_IS5_EEb.has_dyn_sized_stack, 0
	.set _ZN9rocsparseL12csrilu0_hashILj256ELj32ELj4E21rocsparse_complex_numIdEEEviPKiS4_PT2_S4_PiS4_S7_S7_d21rocsparse_index_base_imNS_24const_host_device_scalarIfEENS9_IdEENS9_IS5_EEb.has_recursion, 0
	.set _ZN9rocsparseL12csrilu0_hashILj256ELj32ELj4E21rocsparse_complex_numIdEEEviPKiS4_PT2_S4_PiS4_S7_S7_d21rocsparse_index_base_imNS_24const_host_device_scalarIfEENS9_IdEENS9_IS5_EEb.has_indirect_call, 0
	.section	.AMDGPU.csdata,"",@progbits
; Kernel info:
; codeLenInByte = 3164
; TotalNumSgprs: 68
; NumVgprs: 38
; NumAgprs: 0
; TotalNumVgprs: 38
; ScratchSize: 16
; MemoryBound: 0
; FloatMode: 240
; IeeeMode: 1
; LDSByteSize: 8192 bytes/workgroup (compile time only)
; SGPRBlocks: 8
; VGPRBlocks: 4
; NumSGPRsForWavesPerEU: 68
; NumVGPRsForWavesPerEU: 38
; AccumOffset: 40
; Occupancy: 8
; WaveLimiterHint : 1
; COMPUTE_PGM_RSRC2:SCRATCH_EN: 1
; COMPUTE_PGM_RSRC2:USER_SGPR: 2
; COMPUTE_PGM_RSRC2:TRAP_HANDLER: 0
; COMPUTE_PGM_RSRC2:TGID_X_EN: 1
; COMPUTE_PGM_RSRC2:TGID_Y_EN: 0
; COMPUTE_PGM_RSRC2:TGID_Z_EN: 0
; COMPUTE_PGM_RSRC2:TIDIG_COMP_CNT: 0
; COMPUTE_PGM_RSRC3_GFX90A:ACCUM_OFFSET: 9
; COMPUTE_PGM_RSRC3_GFX90A:TG_SPLIT: 0
	.section	.text._ZN9rocsparseL12csrilu0_hashILj256ELj32ELj8E21rocsparse_complex_numIdEEEviPKiS4_PT2_S4_PiS4_S7_S7_d21rocsparse_index_base_imNS_24const_host_device_scalarIfEENS9_IdEENS9_IS5_EEb,"axG",@progbits,_ZN9rocsparseL12csrilu0_hashILj256ELj32ELj8E21rocsparse_complex_numIdEEEviPKiS4_PT2_S4_PiS4_S7_S7_d21rocsparse_index_base_imNS_24const_host_device_scalarIfEENS9_IdEENS9_IS5_EEb,comdat
	.globl	_ZN9rocsparseL12csrilu0_hashILj256ELj32ELj8E21rocsparse_complex_numIdEEEviPKiS4_PT2_S4_PiS4_S7_S7_d21rocsparse_index_base_imNS_24const_host_device_scalarIfEENS9_IdEENS9_IS5_EEb ; -- Begin function _ZN9rocsparseL12csrilu0_hashILj256ELj32ELj8E21rocsparse_complex_numIdEEEviPKiS4_PT2_S4_PiS4_S7_S7_d21rocsparse_index_base_imNS_24const_host_device_scalarIfEENS9_IdEENS9_IS5_EEb
	.p2align	8
	.type	_ZN9rocsparseL12csrilu0_hashILj256ELj32ELj8E21rocsparse_complex_numIdEEEviPKiS4_PT2_S4_PiS4_S7_S7_d21rocsparse_index_base_imNS_24const_host_device_scalarIfEENS9_IdEENS9_IS5_EEb,@function
_ZN9rocsparseL12csrilu0_hashILj256ELj32ELj8E21rocsparse_complex_numIdEEEviPKiS4_PT2_S4_PiS4_S7_S7_d21rocsparse_index_base_imNS_24const_host_device_scalarIfEENS9_IdEENS9_IS5_EEb: ; @_ZN9rocsparseL12csrilu0_hashILj256ELj32ELj8E21rocsparse_complex_numIdEEEviPKiS4_PT2_S4_PiS4_S7_S7_d21rocsparse_index_base_imNS_24const_host_device_scalarIfEENS9_IdEENS9_IS5_EEb
; %bb.0:
	s_load_dword s3, s[0:1], 0x80
	s_load_dwordx8 s[24:31], s[0:1], 0x58
	s_load_dwordx2 s[4:5], s[0:1], 0x78
	s_load_dwordx2 s[34:35], s[0:1], 0x50
	s_waitcnt lgkmcnt(0)
	s_bitcmp1_b32 s3, 0
	s_cselect_b64 s[8:9], -1, 0
	v_mov_b64_e32 v[2:3], s[30:31]
	s_cmp_eq_u32 s35, 0
	s_cselect_b64 s[14:15], -1, 0
	s_cmp_lg_u32 s35, 0
	s_cselect_b64 s[10:11], -1, 0
	s_or_b64 s[16:17], s[14:15], s[8:9]
	s_xor_b64 s[6:7], s[16:17], -1
	s_and_b64 s[12:13], s[14:15], exec
	s_cselect_b32 s13, 0, s29
	s_cselect_b32 s12, 0, s28
	s_and_b64 vcc, exec, s[16:17]
	scratch_store_dwordx2 off, v[2:3], off
	s_cbranch_vccnz .LBB43_2
; %bb.1:
	s_load_dword s3, s[26:27], 0x0
	s_mov_b64 s[12:13], s[28:29]
	s_waitcnt lgkmcnt(0)
	v_mov_b32_e32 v23, s3
	s_andn2_b64 vcc, exec, s[6:7]
	v_mov_b64_e32 v[12:13], s[12:13]
	s_cbranch_vccz .LBB43_3
	s_branch .LBB43_4
.LBB43_2:
	v_mov_b32_e32 v1, s26
	v_cndmask_b32_e64 v23, v1, 0, s[14:15]
	s_andn2_b64 vcc, exec, s[6:7]
	v_mov_b64_e32 v[12:13], s[12:13]
	s_cbranch_vccnz .LBB43_4
.LBB43_3:
	v_mov_b64_e32 v[2:3], s[28:29]
	flat_load_dwordx2 v[12:13], v[2:3]
.LBB43_4:
	v_cndmask_b32_e64 v1, 0, 1, s[10:11]
	v_mov_b64_e32 v[28:29], 0
	v_cmp_ne_u32_e64 s[6:7], 1, v1
	s_andn2_b64 vcc, exec, s[10:11]
	v_mov_b64_e32 v[26:27], 0
	s_cbranch_vccnz .LBB43_7
; %bb.5:
	s_xor_b64 s[12:13], s[8:9], -1
	s_mov_b64 s[10:11], src_private_base
	s_and_b64 s[8:9], s[8:9], exec
	s_cselect_b32 s3, s11, s31
	s_cselect_b32 s8, 0, s30
	v_mov_b32_e32 v2, s8
	v_mov_b32_e32 v3, s3
	flat_load_dwordx2 v[26:27], v[2:3]
	s_andn2_b64 vcc, exec, s[12:13]
	v_mov_b64_e32 v[28:29], s[4:5]
	s_cbranch_vccnz .LBB43_7
; %bb.6:
	v_mov_b64_e32 v[2:3], s[30:31]
	flat_load_dwordx2 v[28:29], v[2:3] offset:8
.LBB43_7:
	s_load_dword s3, s[0:1], 0x0
	v_lshlrev_b32_e32 v1, 3, v0
	s_lshl_b32 s2, s2, 3
	v_and_b32_e32 v22, 31, v0
	v_and_b32_e32 v1, 0x700, v1
	v_mov_b32_e32 v2, 0x2000
	v_lshrrev_b32_e32 v0, 5, v0
	s_and_b32 s2, s2, 0x7fffff8
	v_lshl_or_b32 v15, v1, 2, v2
	v_or_b32_e32 v0, s2, v0
	v_lshl_or_b32 v2, v22, 2, v15
	v_mov_b32_e32 v3, -1
	s_waitcnt lgkmcnt(0)
	v_cmp_gt_i32_e32 vcc, s3, v0
	ds_write2_b32 v2, v3, v3 offset1:32
	ds_write2_b32 v2, v3, v3 offset0:64 offset1:96
	ds_write2_b32 v2, v3, v3 offset0:128 offset1:160
	;; [unrolled: 1-line block ×3, first 2 shown]
	s_waitcnt lgkmcnt(0)
	s_and_saveexec_b64 s[2:3], vcc
	s_cbranch_execz .LBB43_85
; %bb.8:
	s_load_dwordx16 s[8:23], s[0:1], 0x8
	v_lshlrev_b32_e32 v0, 2, v0
	v_lshlrev_b32_e32 v24, 2, v1
	s_waitcnt lgkmcnt(0)
	global_load_dword v10, v0, s[18:19]
	s_waitcnt vmcnt(0)
	v_ashrrev_i32_e32 v11, 31, v10
	v_lshlrev_b64 v[2:3], 2, v[10:11]
	v_lshl_add_u64 v[4:5], s[8:9], 0, v[2:3]
	global_load_dwordx2 v[4:5], v[4:5], off
	v_lshl_add_u64 v[2:3], s[14:15], 0, v[2:3]
	global_load_dword v14, v[2:3], off
	s_waitcnt vmcnt(1)
	v_subrev_u32_e32 v16, s34, v4
	v_subrev_u32_e32 v2, s34, v5
	v_add_u32_e32 v0, v16, v22
	v_cmp_lt_i32_e32 vcc, v0, v2
	s_and_saveexec_b64 s[2:3], vcc
	s_cbranch_execz .LBB43_31
; %bb.9:
	s_mov_b64 s[4:5], 0
	s_movk_i32 s33, 0x67
	v_mov_b32_e32 v3, -1
	s_branch .LBB43_11
.LBB43_10:                              ;   in Loop: Header=BB43_11 Depth=1
	s_or_b64 exec, exec, s[18:19]
	v_add_u32_e32 v0, 32, v0
	v_cmp_ge_i32_e32 vcc, v0, v2
	s_or_b64 s[4:5], vcc, s[4:5]
	s_andn2_b64 exec, exec, s[4:5]
	s_cbranch_execz .LBB43_31
.LBB43_11:                              ; =>This Loop Header: Depth=1
                                        ;     Child Loop BB43_20 Depth 2
	v_ashrrev_i32_e32 v1, 31, v0
	v_lshl_add_u64 v[4:5], v[0:1], 2, s[10:11]
	global_load_dword v1, v[4:5], off
	v_mov_b32_e32 v4, 0x100
	s_mov_b64 s[26:27], 0
                                        ; implicit-def: $sgpr18_sgpr19
                                        ; implicit-def: $sgpr28_sgpr29
                                        ; implicit-def: $sgpr30_sgpr31
	s_waitcnt vmcnt(0)
	v_mul_lo_u32 v6, v1, s33
	s_branch .LBB43_20
.LBB43_12:                              ;   in Loop: Header=BB43_20 Depth=2
	s_or_b64 exec, exec, s[54:55]
	s_orn2_b64 s[50:51], s[50:51], exec
	s_orn2_b64 s[52:53], s[52:53], exec
.LBB43_13:                              ;   in Loop: Header=BB43_20 Depth=2
	s_or_b64 exec, exec, s[48:49]
	s_and_b64 s[50:51], s[50:51], exec
	s_orn2_b64 s[48:49], s[52:53], exec
.LBB43_14:                              ;   in Loop: Header=BB43_20 Depth=2
	s_or_b64 exec, exec, s[46:47]
	s_orn2_b64 s[50:51], s[50:51], exec
	s_orn2_b64 s[46:47], s[48:49], exec
.LBB43_15:                              ;   in Loop: Header=BB43_20 Depth=2
	s_or_b64 exec, exec, s[44:45]
	s_and_b64 s[48:49], s[50:51], exec
	s_orn2_b64 s[44:45], s[46:47], exec
.LBB43_16:                              ;   in Loop: Header=BB43_20 Depth=2
	s_or_b64 exec, exec, s[42:43]
	s_orn2_b64 s[42:43], s[48:49], exec
	s_orn2_b64 s[44:45], s[44:45], exec
.LBB43_17:                              ;   in Loop: Header=BB43_20 Depth=2
	s_or_b64 exec, exec, s[40:41]
	s_and_b64 s[42:43], s[42:43], exec
	s_orn2_b64 s[40:41], s[44:45], exec
.LBB43_18:                              ;   in Loop: Header=BB43_20 Depth=2
	s_or_b64 exec, exec, s[38:39]
	s_andn2_b64 s[30:31], s[30:31], exec
	s_and_b64 s[38:39], s[42:43], exec
	s_or_b64 s[30:31], s[30:31], s[38:39]
	s_andn2_b64 s[28:29], s[28:29], exec
	s_and_b64 s[38:39], s[40:41], exec
	s_or_b64 s[28:29], s[28:29], s[38:39]
.LBB43_19:                              ;   in Loop: Header=BB43_20 Depth=2
	s_or_b64 exec, exec, s[36:37]
	s_and_b64 s[36:37], exec, s[28:29]
	s_or_b64 s[26:27], s[36:37], s[26:27]
	s_andn2_b64 s[18:19], s[18:19], exec
	s_and_b64 s[36:37], s[30:31], exec
	s_or_b64 s[18:19], s[18:19], s[36:37]
	s_andn2_b64 exec, exec, s[26:27]
	s_cbranch_execz .LBB43_29
.LBB43_20:                              ;   Parent Loop BB43_11 Depth=1
                                        ; =>  This Inner Loop Header: Depth=2
	v_and_b32_e32 v5, 0xff, v6
	v_lshl_add_u32 v7, v5, 2, v15
	ds_read_b32 v8, v7
	s_or_b64 s[30:31], s[30:31], exec
	s_or_b64 s[28:29], s[28:29], exec
	s_waitcnt lgkmcnt(0)
	v_cmp_ne_u32_e32 vcc, v8, v1
	s_and_saveexec_b64 s[36:37], vcc
	s_cbranch_execz .LBB43_19
; %bb.21:                               ;   in Loop: Header=BB43_20 Depth=2
	ds_cmpst_rtn_b32 v7, v7, v3, v1
	s_mov_b64 s[40:41], -1
	s_mov_b64 s[42:43], 0
	s_waitcnt lgkmcnt(0)
	v_cmp_ne_u32_e32 vcc, -1, v7
	s_and_saveexec_b64 s[38:39], vcc
	s_cbranch_execz .LBB43_18
; %bb.22:                               ;   in Loop: Header=BB43_20 Depth=2
	v_add_u32_e32 v5, 1, v6
	v_and_b32_e32 v5, 0xff, v5
	v_lshl_add_u32 v7, v5, 2, v15
	ds_read_b32 v8, v7
	s_mov_b64 s[44:45], -1
	s_mov_b64 s[42:43], -1
	s_waitcnt lgkmcnt(0)
	v_cmp_ne_u32_e32 vcc, v8, v1
	s_and_saveexec_b64 s[40:41], vcc
	s_cbranch_execz .LBB43_17
; %bb.23:                               ;   in Loop: Header=BB43_20 Depth=2
	ds_cmpst_rtn_b32 v7, v7, v3, v1
	s_mov_b64 s[48:49], 0
	s_waitcnt lgkmcnt(0)
	v_cmp_ne_u32_e32 vcc, -1, v7
	s_and_saveexec_b64 s[42:43], vcc
	s_cbranch_execz .LBB43_16
; %bb.24:                               ;   in Loop: Header=BB43_20 Depth=2
	v_add_u32_e32 v5, 2, v6
	v_and_b32_e32 v5, 0xff, v5
	v_lshl_add_u32 v7, v5, 2, v15
	ds_read_b32 v8, v7
	s_mov_b64 s[46:47], -1
	s_mov_b64 s[50:51], -1
	s_waitcnt lgkmcnt(0)
	v_cmp_ne_u32_e32 vcc, v8, v1
	s_and_saveexec_b64 s[44:45], vcc
	s_cbranch_execz .LBB43_15
; %bb.25:                               ;   in Loop: Header=BB43_20 Depth=2
	ds_cmpst_rtn_b32 v7, v7, v3, v1
	s_mov_b64 s[48:49], -1
	s_mov_b64 s[50:51], 0
	s_waitcnt lgkmcnt(0)
	v_cmp_ne_u32_e32 vcc, -1, v7
	s_and_saveexec_b64 s[46:47], vcc
	s_cbranch_execz .LBB43_14
; %bb.26:                               ;   in Loop: Header=BB43_20 Depth=2
	v_add_u32_e32 v5, 3, v6
	v_and_b32_e32 v5, 0xff, v5
	v_lshl_add_u32 v7, v5, 2, v15
	ds_read_b32 v6, v7
	s_mov_b64 s[52:53], -1
	s_mov_b64 s[50:51], -1
	s_waitcnt lgkmcnt(0)
	v_cmp_ne_u32_e32 vcc, v6, v1
                                        ; implicit-def: $vgpr6
	s_and_saveexec_b64 s[48:49], vcc
	s_cbranch_execz .LBB43_13
; %bb.27:                               ;   in Loop: Header=BB43_20 Depth=2
	ds_cmpst_rtn_b32 v6, v7, v3, v1
	s_mov_b64 s[50:51], 0
	s_waitcnt lgkmcnt(0)
	v_cmp_ne_u32_e32 vcc, -1, v6
                                        ; implicit-def: $vgpr6
	s_and_saveexec_b64 s[54:55], vcc
	s_cbranch_execz .LBB43_12
; %bb.28:                               ;   in Loop: Header=BB43_20 Depth=2
	v_add_u32_e32 v4, -4, v4
	v_cmp_eq_u32_e32 vcc, 0, v4
	s_mov_b64 s[50:51], exec
	v_add_u32_e32 v6, 1, v5
	s_orn2_b64 s[52:53], vcc, exec
	s_branch .LBB43_12
.LBB43_29:                              ;   in Loop: Header=BB43_11 Depth=1
	s_or_b64 exec, exec, s[26:27]
	s_xor_b64 s[18:19], s[18:19], -1
	s_and_saveexec_b64 s[26:27], s[18:19]
	s_xor_b64 s[18:19], exec, s[26:27]
	s_cbranch_execz .LBB43_10
; %bb.30:                               ;   in Loop: Header=BB43_11 Depth=1
	v_lshl_add_u32 v1, v5, 2, v24
	ds_write_b32 v1, v0
	s_branch .LBB43_10
.LBB43_31:
	s_or_b64 exec, exec, s[2:3]
	s_waitcnt vmcnt(0)
	v_cmp_lt_i32_e32 vcc, v16, v14
	s_waitcnt lgkmcnt(0)
	s_and_saveexec_b64 s[4:5], vcc
	s_cbranch_execz .LBB43_61
; %bb.32:
	v_add_u32_e32 v25, 1, v22
	s_mov_b64 s[18:19], 0
	s_movk_i32 s33, 0x67
	s_branch .LBB43_35
.LBB43_33:                              ;   in Loop: Header=BB43_35 Depth=1
	s_or_b64 exec, exec, s[26:27]
	v_add_u32_e32 v16, 1, v16
	v_cmp_ge_i32_e32 vcc, v16, v14
	s_orn2_b64 s[26:27], vcc, exec
.LBB43_34:                              ;   in Loop: Header=BB43_35 Depth=1
	s_or_b64 exec, exec, s[2:3]
	s_and_b64 s[2:3], exec, s[26:27]
	s_or_b64 s[18:19], s[2:3], s[18:19]
	s_andn2_b64 exec, exec, s[18:19]
	s_cbranch_execz .LBB43_61
.LBB43_35:                              ; =>This Loop Header: Depth=1
                                        ;     Child Loop BB43_36 Depth 2
                                        ;     Child Loop BB43_41 Depth 2
                                        ;       Child Loop BB43_50 Depth 3
	v_ashrrev_i32_e32 v17, 31, v16
	v_lshl_add_u64 v[0:1], v[16:17], 2, s[10:11]
	global_load_dword v0, v[0:1], off
	v_lshl_add_u64 v[18:19], v[16:17], 4, s[12:13]
	global_load_dwordx4 v[2:5], v[18:19], off
	s_mov_b64 s[2:3], 0
	s_waitcnt vmcnt(1)
	v_subrev_u32_e32 v0, s34, v0
	v_ashrrev_i32_e32 v1, 31, v0
	v_lshlrev_b64 v[0:1], 2, v[0:1]
	v_lshl_add_u64 v[8:9], s[8:9], 0, v[0:1]
	v_lshl_add_u64 v[20:21], s[14:15], 0, v[0:1]
	global_load_dword v7, v[8:9], off offset:4
	global_load_dword v6, v[20:21], off
	v_lshl_add_u64 v[0:1], s[16:17], 0, v[0:1]
.LBB43_36:                              ;   Parent Loop BB43_35 Depth=1
                                        ; =>  This Inner Loop Header: Depth=2
	global_load_dword v8, v[0:1], off sc1
	s_waitcnt vmcnt(0)
	v_cmp_ne_u32_e32 vcc, 0, v8
	s_or_b64 s[2:3], vcc, s[2:3]
	s_andn2_b64 exec, exec, s[2:3]
	s_cbranch_execnz .LBB43_36
; %bb.37:                               ;   in Loop: Header=BB43_35 Depth=1
	s_or_b64 exec, exec, s[2:3]
	v_subrev_u32_e32 v17, s34, v7
	v_add_u32_e32 v0, -1, v17
	v_cmp_eq_u32_e32 vcc, -1, v6
	buffer_inv sc1
	s_mov_b64 s[26:27], -1
	v_cndmask_b32_e32 v20, v6, v0, vcc
	v_ashrrev_i32_e32 v21, 31, v20
	v_lshl_add_u64 v[0:1], v[20:21], 4, s[12:13]
	global_load_dwordx4 v[6:9], v[0:1], off
	s_waitcnt vmcnt(0)
	v_cmp_neq_f64_e32 vcc, 0, v[6:7]
	v_cmp_neq_f64_e64 s[2:3], 0, v[8:9]
	s_or_b64 s[28:29], vcc, s[2:3]
	s_and_saveexec_b64 s[2:3], s[28:29]
	s_cbranch_execz .LBB43_34
; %bb.38:                               ;   in Loop: Header=BB43_35 Depth=1
	v_mul_f64 v[0:1], v[8:9], v[8:9]
	v_fmac_f64_e32 v[0:1], v[6:7], v[6:7]
	v_div_scale_f64 v[30:31], s[26:27], v[0:1], v[0:1], 1.0
	v_rcp_f64_e32 v[32:33], v[30:31]
	v_div_scale_f64 v[34:35], vcc, 1.0, v[0:1], 1.0
	v_fma_f64 v[36:37], -v[30:31], v[32:33], 1.0
	v_fmac_f64_e32 v[32:33], v[32:33], v[36:37]
	v_fma_f64 v[36:37], -v[30:31], v[32:33], 1.0
	v_fmac_f64_e32 v[32:33], v[32:33], v[36:37]
	v_mul_f64 v[36:37], v[34:35], v[32:33]
	v_fma_f64 v[30:31], -v[30:31], v[36:37], v[34:35]
	v_div_fmas_f64 v[30:31], v[30:31], v[32:33], v[36:37]
	v_div_fixup_f64 v[30:31], v[30:31], v[0:1], 1.0
	v_mul_f64 v[0:1], v[4:5], v[8:9]
	v_fmac_f64_e32 v[0:1], v[2:3], v[6:7]
	v_mul_f64 v[2:3], v[8:9], -v[2:3]
	v_fmac_f64_e32 v[2:3], v[4:5], v[6:7]
	v_add_u32_e32 v4, v25, v20
	v_mul_f64 v[0:1], v[0:1], v[30:31]
	v_mul_f64 v[2:3], v[2:3], v[30:31]
	v_cmp_lt_i32_e32 vcc, v4, v17
	global_store_dwordx4 v[18:19], v[0:3], off
	s_and_saveexec_b64 s[26:27], vcc
	s_cbranch_execz .LBB43_33
; %bb.39:                               ;   in Loop: Header=BB43_35 Depth=1
	s_mov_b64 s[28:29], 0
	s_branch .LBB43_41
.LBB43_40:                              ;   in Loop: Header=BB43_41 Depth=2
	s_or_b64 exec, exec, s[30:31]
	v_add_u32_e32 v4, 32, v4
	v_cmp_ge_i32_e32 vcc, v4, v17
	s_or_b64 s[28:29], vcc, s[28:29]
	s_andn2_b64 exec, exec, s[28:29]
	s_cbranch_execz .LBB43_33
.LBB43_41:                              ;   Parent Loop BB43_35 Depth=1
                                        ; =>  This Loop Header: Depth=2
                                        ;       Child Loop BB43_50 Depth 3
	v_ashrrev_i32_e32 v5, 31, v4
	v_lshl_add_u64 v[6:7], v[4:5], 2, s[10:11]
	global_load_dword v6, v[6:7], off
	v_mov_b32_e32 v7, 0x100
	s_mov_b64 s[36:37], 0
                                        ; implicit-def: $sgpr30_sgpr31
                                        ; implicit-def: $sgpr38_sgpr39
                                        ; implicit-def: $sgpr40_sgpr41
	s_waitcnt vmcnt(0)
	v_mul_lo_u32 v9, v6, s33
	s_branch .LBB43_50
.LBB43_42:                              ;   in Loop: Header=BB43_50 Depth=3
	s_or_b64 exec, exec, s[60:61]
	s_orn2_b64 s[56:57], s[56:57], exec
	s_orn2_b64 s[58:59], s[58:59], exec
.LBB43_43:                              ;   in Loop: Header=BB43_50 Depth=3
	s_or_b64 exec, exec, s[54:55]
	s_and_b64 s[56:57], s[56:57], exec
	s_orn2_b64 s[54:55], s[58:59], exec
.LBB43_44:                              ;   in Loop: Header=BB43_50 Depth=3
	s_or_b64 exec, exec, s[52:53]
	s_orn2_b64 s[56:57], s[56:57], exec
	s_orn2_b64 s[52:53], s[54:55], exec
.LBB43_45:                              ;   in Loop: Header=BB43_50 Depth=3
	s_or_b64 exec, exec, s[50:51]
	s_and_b64 s[54:55], s[56:57], exec
	s_orn2_b64 s[50:51], s[52:53], exec
.LBB43_46:                              ;   in Loop: Header=BB43_50 Depth=3
	s_or_b64 exec, exec, s[48:49]
	s_orn2_b64 s[48:49], s[54:55], exec
	s_orn2_b64 s[50:51], s[50:51], exec
.LBB43_47:                              ;   in Loop: Header=BB43_50 Depth=3
	s_or_b64 exec, exec, s[46:47]
	s_and_b64 s[48:49], s[48:49], exec
	s_orn2_b64 s[46:47], s[50:51], exec
.LBB43_48:                              ;   in Loop: Header=BB43_50 Depth=3
	s_or_b64 exec, exec, s[44:45]
	s_andn2_b64 s[40:41], s[40:41], exec
	s_and_b64 s[44:45], s[48:49], exec
	s_or_b64 s[40:41], s[40:41], s[44:45]
	s_andn2_b64 s[38:39], s[38:39], exec
	s_and_b64 s[44:45], s[46:47], exec
	s_or_b64 s[38:39], s[38:39], s[44:45]
.LBB43_49:                              ;   in Loop: Header=BB43_50 Depth=3
	s_or_b64 exec, exec, s[42:43]
	s_and_b64 s[42:43], exec, s[38:39]
	s_or_b64 s[36:37], s[42:43], s[36:37]
	s_andn2_b64 s[30:31], s[30:31], exec
	s_and_b64 s[42:43], s[40:41], exec
	s_or_b64 s[30:31], s[30:31], s[42:43]
	s_andn2_b64 exec, exec, s[36:37]
	s_cbranch_execz .LBB43_59
.LBB43_50:                              ;   Parent Loop BB43_35 Depth=1
                                        ;     Parent Loop BB43_41 Depth=2
                                        ; =>    This Inner Loop Header: Depth=3
	v_and_b32_e32 v8, 0xff, v9
	v_lshl_add_u32 v18, v8, 2, v15
	ds_read_b32 v18, v18
	s_or_b64 s[40:41], s[40:41], exec
	s_or_b64 s[38:39], s[38:39], exec
	s_waitcnt lgkmcnt(0)
	v_cmp_ne_u32_e32 vcc, -1, v18
	s_and_saveexec_b64 s[42:43], vcc
	s_cbranch_execz .LBB43_49
; %bb.51:                               ;   in Loop: Header=BB43_50 Depth=3
	v_cmp_ne_u32_e32 vcc, v18, v6
	s_mov_b64 s[46:47], -1
	s_mov_b64 s[48:49], 0
	s_and_saveexec_b64 s[44:45], vcc
	s_cbranch_execz .LBB43_48
; %bb.52:                               ;   in Loop: Header=BB43_50 Depth=3
	v_add_u32_e32 v8, 1, v9
	v_and_b32_e32 v8, 0xff, v8
	v_lshl_add_u32 v18, v8, 2, v15
	ds_read_b32 v18, v18
	s_mov_b64 s[50:51], -1
	s_mov_b64 s[48:49], -1
	s_waitcnt lgkmcnt(0)
	v_cmp_ne_u32_e32 vcc, -1, v18
	s_and_saveexec_b64 s[46:47], vcc
	s_cbranch_execz .LBB43_47
; %bb.53:                               ;   in Loop: Header=BB43_50 Depth=3
	v_cmp_ne_u32_e32 vcc, v18, v6
	s_mov_b64 s[54:55], 0
	s_and_saveexec_b64 s[48:49], vcc
	s_cbranch_execz .LBB43_46
; %bb.54:                               ;   in Loop: Header=BB43_50 Depth=3
	v_add_u32_e32 v8, 2, v9
	v_and_b32_e32 v8, 0xff, v8
	v_lshl_add_u32 v18, v8, 2, v15
	ds_read_b32 v18, v18
	s_mov_b64 s[52:53], -1
	s_mov_b64 s[56:57], -1
	s_waitcnt lgkmcnt(0)
	v_cmp_ne_u32_e32 vcc, -1, v18
	s_and_saveexec_b64 s[50:51], vcc
	s_cbranch_execz .LBB43_45
; %bb.55:                               ;   in Loop: Header=BB43_50 Depth=3
	v_cmp_ne_u32_e32 vcc, v18, v6
	s_mov_b64 s[54:55], -1
	s_mov_b64 s[56:57], 0
	s_and_saveexec_b64 s[52:53], vcc
	s_cbranch_execz .LBB43_44
; %bb.56:                               ;   in Loop: Header=BB43_50 Depth=3
	v_add_u32_e32 v8, 3, v9
	v_and_b32_e32 v8, 0xff, v8
	v_lshl_add_u32 v9, v8, 2, v15
	ds_read_b32 v18, v9
	s_mov_b64 s[58:59], -1
	s_mov_b64 s[56:57], -1
                                        ; implicit-def: $vgpr9
	s_waitcnt lgkmcnt(0)
	v_cmp_ne_u32_e32 vcc, -1, v18
	s_and_saveexec_b64 s[54:55], vcc
	s_cbranch_execz .LBB43_43
; %bb.57:                               ;   in Loop: Header=BB43_50 Depth=3
	v_cmp_ne_u32_e32 vcc, v18, v6
	s_mov_b64 s[56:57], 0
                                        ; implicit-def: $vgpr9
	s_and_saveexec_b64 s[60:61], vcc
	s_cbranch_execz .LBB43_42
; %bb.58:                               ;   in Loop: Header=BB43_50 Depth=3
	v_add_u32_e32 v7, -4, v7
	v_cmp_eq_u32_e32 vcc, 0, v7
	s_mov_b64 s[56:57], exec
	v_add_u32_e32 v9, 1, v8
	s_orn2_b64 s[58:59], vcc, exec
	s_branch .LBB43_42
.LBB43_59:                              ;   in Loop: Header=BB43_41 Depth=2
	s_or_b64 exec, exec, s[36:37]
	s_xor_b64 s[30:31], s[30:31], -1
	s_and_saveexec_b64 s[36:37], s[30:31]
	s_xor_b64 s[30:31], exec, s[36:37]
	s_cbranch_execz .LBB43_40
; %bb.60:                               ;   in Loop: Header=BB43_41 Depth=2
	v_lshl_add_u32 v6, v8, 2, v24
	ds_read_b32 v6, v6
	v_lshl_add_u64 v[30:31], v[4:5], 4, s[12:13]
	s_waitcnt lgkmcnt(0)
	v_ashrrev_i32_e32 v7, 31, v6
	v_lshl_add_u64 v[32:33], v[6:7], 4, s[12:13]
	global_load_dwordx4 v[6:9], v[30:31], off
	global_load_dwordx4 v[18:21], v[32:33], off
	s_waitcnt vmcnt(0)
	v_fma_f64 v[18:19], -v[0:1], v[6:7], v[18:19]
	v_fma_f64 v[6:7], -v[2:3], v[6:7], v[20:21]
	v_fmac_f64_e32 v[18:19], v[2:3], v[8:9]
	v_fma_f64 v[20:21], -v[0:1], v[8:9], v[6:7]
	global_store_dwordx4 v[32:33], v[18:21], off
	s_branch .LBB43_40
.LBB43_61:
	s_or_b64 exec, exec, s[4:5]
	v_cmp_lt_i32_e32 vcc, -1, v14
	s_and_saveexec_b64 s[2:3], vcc
	s_cbranch_execz .LBB43_83
; %bb.62:
	v_mov_b32_e32 v15, 0
	v_lshl_add_u64 v[4:5], v[14:15], 4, s[12:13]
	global_load_dwordx4 v[0:3], v[4:5], off
                                        ; implicit-def: $vgpr14_vgpr15
	s_waitcnt vmcnt(0)
	v_xor_b32_e32 v7, 0x80000000, v1
	v_cmp_gt_f64_e32 vcc, 0, v[0:1]
	v_xor_b32_e32 v8, 0x80000000, v3
	v_mov_b32_e32 v6, v0
	v_cndmask_b32_e32 v7, v1, v7, vcc
	v_cmp_gt_f64_e32 vcc, 0, v[2:3]
	s_nop 1
	v_cndmask_b32_e32 v9, v3, v8, vcc
	v_mov_b32_e32 v8, v2
	v_cmp_ngt_f64_e32 vcc, v[6:7], v[8:9]
	s_and_saveexec_b64 s[4:5], vcc
	s_xor_b64 s[4:5], exec, s[4:5]
	s_cbranch_execz .LBB43_66
; %bb.63:
	v_mov_b64_e32 v[14:15], 0
	v_cmp_neq_f64_e32 vcc, 0, v[2:3]
	s_and_saveexec_b64 s[8:9], vcc
	s_cbranch_execz .LBB43_65
; %bb.64:
	v_div_scale_f64 v[14:15], s[10:11], v[8:9], v[8:9], v[6:7]
	v_rcp_f64_e32 v[16:17], v[14:15]
	v_div_scale_f64 v[18:19], vcc, v[6:7], v[8:9], v[6:7]
	s_mov_b32 s10, 0
	v_fma_f64 v[20:21], -v[14:15], v[16:17], 1.0
	v_fmac_f64_e32 v[16:17], v[16:17], v[20:21]
	v_fma_f64 v[20:21], -v[14:15], v[16:17], 1.0
	v_fmac_f64_e32 v[16:17], v[16:17], v[20:21]
	v_mul_f64 v[20:21], v[18:19], v[16:17]
	v_fma_f64 v[14:15], -v[14:15], v[20:21], v[18:19]
	v_div_fmas_f64 v[14:15], v[14:15], v[16:17], v[20:21]
	v_div_fixup_f64 v[6:7], v[14:15], v[8:9], v[6:7]
	v_fma_f64 v[6:7], v[6:7], v[6:7], 1.0
	s_brev_b32 s11, 8
	v_mov_b32_e32 v14, 0x100
	v_cmp_gt_f64_e32 vcc, s[10:11], v[6:7]
	s_nop 1
	v_cndmask_b32_e32 v14, 0, v14, vcc
	v_ldexp_f64 v[6:7], v[6:7], v14
	v_rsq_f64_e32 v[14:15], v[6:7]
	s_nop 0
	v_mul_f64 v[16:17], v[6:7], v[14:15]
	v_mul_f64 v[14:15], v[14:15], 0.5
	v_fma_f64 v[18:19], -v[14:15], v[16:17], 0.5
	v_fmac_f64_e32 v[16:17], v[16:17], v[18:19]
	v_fma_f64 v[20:21], -v[16:17], v[16:17], v[6:7]
	v_fmac_f64_e32 v[14:15], v[14:15], v[18:19]
	v_fmac_f64_e32 v[16:17], v[20:21], v[14:15]
	v_fma_f64 v[18:19], -v[16:17], v[16:17], v[6:7]
	v_fmac_f64_e32 v[16:17], v[18:19], v[14:15]
	v_mov_b32_e32 v14, 0xffffff80
	v_cndmask_b32_e32 v14, 0, v14, vcc
	v_ldexp_f64 v[14:15], v[16:17], v14
	v_mov_b32_e32 v16, 0x260
	v_cmp_class_f64_e32 vcc, v[6:7], v16
	s_nop 1
	v_cndmask_b32_e32 v7, v15, v7, vcc
	v_cndmask_b32_e32 v6, v14, v6, vcc
	v_mul_f64 v[14:15], v[8:9], v[6:7]
.LBB43_65:
	s_or_b64 exec, exec, s[8:9]
                                        ; implicit-def: $vgpr6_vgpr7
                                        ; implicit-def: $vgpr8_vgpr9
.LBB43_66:
	s_andn2_saveexec_b64 s[4:5], s[4:5]
	s_cbranch_execz .LBB43_68
; %bb.67:
	v_div_scale_f64 v[14:15], s[8:9], v[6:7], v[6:7], v[8:9]
	v_rcp_f64_e32 v[16:17], v[14:15]
	v_div_scale_f64 v[18:19], vcc, v[8:9], v[6:7], v[8:9]
	s_mov_b32 s8, 0
	v_fma_f64 v[20:21], -v[14:15], v[16:17], 1.0
	v_fmac_f64_e32 v[16:17], v[16:17], v[20:21]
	v_fma_f64 v[20:21], -v[14:15], v[16:17], 1.0
	v_fmac_f64_e32 v[16:17], v[16:17], v[20:21]
	v_mul_f64 v[20:21], v[18:19], v[16:17]
	v_fma_f64 v[14:15], -v[14:15], v[20:21], v[18:19]
	v_div_fmas_f64 v[14:15], v[14:15], v[16:17], v[20:21]
	v_div_fixup_f64 v[8:9], v[14:15], v[6:7], v[8:9]
	v_fma_f64 v[8:9], v[8:9], v[8:9], 1.0
	s_brev_b32 s9, 8
	v_mov_b32_e32 v14, 0x100
	v_cmp_gt_f64_e32 vcc, s[8:9], v[8:9]
	s_nop 1
	v_cndmask_b32_e32 v14, 0, v14, vcc
	v_ldexp_f64 v[8:9], v[8:9], v14
	v_rsq_f64_e32 v[14:15], v[8:9]
	s_nop 0
	v_mul_f64 v[16:17], v[8:9], v[14:15]
	v_mul_f64 v[14:15], v[14:15], 0.5
	v_fma_f64 v[18:19], -v[14:15], v[16:17], 0.5
	v_fmac_f64_e32 v[16:17], v[16:17], v[18:19]
	v_fma_f64 v[20:21], -v[16:17], v[16:17], v[8:9]
	v_fmac_f64_e32 v[14:15], v[14:15], v[18:19]
	v_fmac_f64_e32 v[16:17], v[20:21], v[14:15]
	v_fma_f64 v[18:19], -v[16:17], v[16:17], v[8:9]
	v_fmac_f64_e32 v[16:17], v[18:19], v[14:15]
	v_mov_b32_e32 v14, 0xffffff80
	v_cndmask_b32_e32 v14, 0, v14, vcc
	v_ldexp_f64 v[14:15], v[16:17], v14
	v_mov_b32_e32 v16, 0x260
	v_cmp_class_f64_e32 vcc, v[8:9], v16
	s_nop 1
	v_cndmask_b32_e32 v9, v15, v9, vcc
	v_cndmask_b32_e32 v8, v14, v8, vcc
	v_mul_f64 v[14:15], v[6:7], v[8:9]
.LBB43_68:
	s_or_b64 exec, exec, s[4:5]
	v_cmp_eq_u32_e64 s[4:5], 0, v22
	s_and_b64 vcc, exec, s[6:7]
	s_mov_b64 s[6:7], -1
	s_cbranch_vccnz .LBB43_72
; %bb.69:
	s_cmp_eq_u64 s[24:25], 8
	v_cvt_f64_f32_e32 v[6:7], v23
	s_cselect_b64 vcc, -1, 0
	v_cndmask_b32_e32 v7, v7, v13, vcc
	v_cndmask_b32_e32 v6, v6, v12, vcc
	v_cmp_le_f64_e32 vcc, v[14:15], v[6:7]
	s_and_b64 s[8:9], s[4:5], vcc
	s_and_saveexec_b64 s[6:7], s[8:9]
	s_cbranch_execz .LBB43_71
; %bb.70:
	global_store_dwordx4 v[4:5], v[26:29], off
	buffer_wbl2 sc1
	s_waitcnt vmcnt(0)
	buffer_inv sc1
.LBB43_71:
	s_or_b64 exec, exec, s[6:7]
	s_mov_b64 s[6:7], 0
.LBB43_72:
	s_andn2_b64 vcc, exec, s[6:7]
	s_cbranch_vccnz .LBB43_83
; %bb.73:
	s_load_dwordx2 s[0:1], s[0:1], 0x48
	v_add_u32_e32 v4, s34, v10
	s_waitcnt lgkmcnt(0)
	v_cmp_ge_f64_e32 vcc, s[0:1], v[14:15]
	s_and_b64 s[6:7], s[4:5], vcc
	s_and_saveexec_b64 s[0:1], s[6:7]
	s_cbranch_execz .LBB43_78
; %bb.74:
	s_mov_b64 s[6:7], exec
	s_brev_b32 s8, -2
.LBB43_75:                              ; =>This Inner Loop Header: Depth=1
	s_ff1_i32_b64 s9, s[6:7]
	v_readlane_b32 s12, v4, s9
	s_lshl_b64 s[10:11], 1, s9
	s_min_i32 s8, s8, s12
	s_andn2_b64 s[6:7], s[6:7], s[10:11]
	s_cmp_lg_u64 s[6:7], 0
	s_cbranch_scc1 .LBB43_75
; %bb.76:
	v_mbcnt_lo_u32_b32 v5, exec_lo, 0
	v_mbcnt_hi_u32_b32 v5, exec_hi, v5
	v_cmp_eq_u32_e32 vcc, 0, v5
	s_and_saveexec_b64 s[6:7], vcc
	s_xor_b64 s[6:7], exec, s[6:7]
	s_cbranch_execz .LBB43_78
; %bb.77:
	v_mov_b32_e32 v5, 0
	v_mov_b32_e32 v6, s8
	global_atomic_smin v5, v6, s[22:23]
.LBB43_78:
	s_or_b64 exec, exec, s[0:1]
	v_cmp_eq_f64_e32 vcc, 0, v[0:1]
	v_cmp_eq_f64_e64 s[0:1], 0, v[2:3]
	s_and_b64 s[0:1], vcc, s[0:1]
	s_and_b64 s[0:1], s[4:5], s[0:1]
	s_and_b64 exec, exec, s[0:1]
	s_cbranch_execz .LBB43_83
; %bb.79:
	s_mov_b64 s[0:1], exec
	s_brev_b32 s4, -2
.LBB43_80:                              ; =>This Inner Loop Header: Depth=1
	s_ff1_i32_b64 s5, s[0:1]
	v_readlane_b32 s8, v4, s5
	s_lshl_b64 s[6:7], 1, s5
	s_min_i32 s4, s4, s8
	s_andn2_b64 s[0:1], s[0:1], s[6:7]
	s_cmp_lg_u64 s[0:1], 0
	s_cbranch_scc1 .LBB43_80
; %bb.81:
	v_mbcnt_lo_u32_b32 v0, exec_lo, 0
	v_mbcnt_hi_u32_b32 v0, exec_hi, v0
	v_cmp_eq_u32_e32 vcc, 0, v0
	s_and_saveexec_b64 s[0:1], vcc
	s_xor_b64 s[0:1], exec, s[0:1]
	s_cbranch_execz .LBB43_83
; %bb.82:
	v_mov_b32_e32 v0, 0
	v_mov_b32_e32 v1, s4
	global_atomic_smin v0, v1, s[20:21]
.LBB43_83:
	s_or_b64 exec, exec, s[2:3]
	v_cmp_eq_u32_e32 vcc, 0, v22
	buffer_wbl2 sc1
	s_waitcnt vmcnt(0)
	buffer_inv sc1
	s_and_b64 exec, exec, vcc
	s_cbranch_execz .LBB43_85
; %bb.84:
	v_lshl_add_u64 v[0:1], v[10:11], 2, s[16:17]
	v_mov_b32_e32 v2, 1
	buffer_wbl2 sc1
	global_store_dword v[0:1], v2, off sc1
.LBB43_85:
	s_endpgm
	.section	.rodata,"a",@progbits
	.p2align	6, 0x0
	.amdhsa_kernel _ZN9rocsparseL12csrilu0_hashILj256ELj32ELj8E21rocsparse_complex_numIdEEEviPKiS4_PT2_S4_PiS4_S7_S7_d21rocsparse_index_base_imNS_24const_host_device_scalarIfEENS9_IdEENS9_IS5_EEb
		.amdhsa_group_segment_fixed_size 16384
		.amdhsa_private_segment_fixed_size 16
		.amdhsa_kernarg_size 132
		.amdhsa_user_sgpr_count 2
		.amdhsa_user_sgpr_dispatch_ptr 0
		.amdhsa_user_sgpr_queue_ptr 0
		.amdhsa_user_sgpr_kernarg_segment_ptr 1
		.amdhsa_user_sgpr_dispatch_id 0
		.amdhsa_user_sgpr_kernarg_preload_length 0
		.amdhsa_user_sgpr_kernarg_preload_offset 0
		.amdhsa_user_sgpr_private_segment_size 0
		.amdhsa_uses_dynamic_stack 0
		.amdhsa_enable_private_segment 1
		.amdhsa_system_sgpr_workgroup_id_x 1
		.amdhsa_system_sgpr_workgroup_id_y 0
		.amdhsa_system_sgpr_workgroup_id_z 0
		.amdhsa_system_sgpr_workgroup_info 0
		.amdhsa_system_vgpr_workitem_id 0
		.amdhsa_next_free_vgpr 38
		.amdhsa_next_free_sgpr 62
		.amdhsa_accum_offset 40
		.amdhsa_reserve_vcc 1
		.amdhsa_float_round_mode_32 0
		.amdhsa_float_round_mode_16_64 0
		.amdhsa_float_denorm_mode_32 3
		.amdhsa_float_denorm_mode_16_64 3
		.amdhsa_dx10_clamp 1
		.amdhsa_ieee_mode 1
		.amdhsa_fp16_overflow 0
		.amdhsa_tg_split 0
		.amdhsa_exception_fp_ieee_invalid_op 0
		.amdhsa_exception_fp_denorm_src 0
		.amdhsa_exception_fp_ieee_div_zero 0
		.amdhsa_exception_fp_ieee_overflow 0
		.amdhsa_exception_fp_ieee_underflow 0
		.amdhsa_exception_fp_ieee_inexact 0
		.amdhsa_exception_int_div_zero 0
	.end_amdhsa_kernel
	.section	.text._ZN9rocsparseL12csrilu0_hashILj256ELj32ELj8E21rocsparse_complex_numIdEEEviPKiS4_PT2_S4_PiS4_S7_S7_d21rocsparse_index_base_imNS_24const_host_device_scalarIfEENS9_IdEENS9_IS5_EEb,"axG",@progbits,_ZN9rocsparseL12csrilu0_hashILj256ELj32ELj8E21rocsparse_complex_numIdEEEviPKiS4_PT2_S4_PiS4_S7_S7_d21rocsparse_index_base_imNS_24const_host_device_scalarIfEENS9_IdEENS9_IS5_EEb,comdat
.Lfunc_end43:
	.size	_ZN9rocsparseL12csrilu0_hashILj256ELj32ELj8E21rocsparse_complex_numIdEEEviPKiS4_PT2_S4_PiS4_S7_S7_d21rocsparse_index_base_imNS_24const_host_device_scalarIfEENS9_IdEENS9_IS5_EEb, .Lfunc_end43-_ZN9rocsparseL12csrilu0_hashILj256ELj32ELj8E21rocsparse_complex_numIdEEEviPKiS4_PT2_S4_PiS4_S7_S7_d21rocsparse_index_base_imNS_24const_host_device_scalarIfEENS9_IdEENS9_IS5_EEb
                                        ; -- End function
	.set _ZN9rocsparseL12csrilu0_hashILj256ELj32ELj8E21rocsparse_complex_numIdEEEviPKiS4_PT2_S4_PiS4_S7_S7_d21rocsparse_index_base_imNS_24const_host_device_scalarIfEENS9_IdEENS9_IS5_EEb.num_vgpr, 38
	.set _ZN9rocsparseL12csrilu0_hashILj256ELj32ELj8E21rocsparse_complex_numIdEEEviPKiS4_PT2_S4_PiS4_S7_S7_d21rocsparse_index_base_imNS_24const_host_device_scalarIfEENS9_IdEENS9_IS5_EEb.num_agpr, 0
	.set _ZN9rocsparseL12csrilu0_hashILj256ELj32ELj8E21rocsparse_complex_numIdEEEviPKiS4_PT2_S4_PiS4_S7_S7_d21rocsparse_index_base_imNS_24const_host_device_scalarIfEENS9_IdEENS9_IS5_EEb.numbered_sgpr, 62
	.set _ZN9rocsparseL12csrilu0_hashILj256ELj32ELj8E21rocsparse_complex_numIdEEEviPKiS4_PT2_S4_PiS4_S7_S7_d21rocsparse_index_base_imNS_24const_host_device_scalarIfEENS9_IdEENS9_IS5_EEb.num_named_barrier, 0
	.set _ZN9rocsparseL12csrilu0_hashILj256ELj32ELj8E21rocsparse_complex_numIdEEEviPKiS4_PT2_S4_PiS4_S7_S7_d21rocsparse_index_base_imNS_24const_host_device_scalarIfEENS9_IdEENS9_IS5_EEb.private_seg_size, 16
	.set _ZN9rocsparseL12csrilu0_hashILj256ELj32ELj8E21rocsparse_complex_numIdEEEviPKiS4_PT2_S4_PiS4_S7_S7_d21rocsparse_index_base_imNS_24const_host_device_scalarIfEENS9_IdEENS9_IS5_EEb.uses_vcc, 1
	.set _ZN9rocsparseL12csrilu0_hashILj256ELj32ELj8E21rocsparse_complex_numIdEEEviPKiS4_PT2_S4_PiS4_S7_S7_d21rocsparse_index_base_imNS_24const_host_device_scalarIfEENS9_IdEENS9_IS5_EEb.uses_flat_scratch, 0
	.set _ZN9rocsparseL12csrilu0_hashILj256ELj32ELj8E21rocsparse_complex_numIdEEEviPKiS4_PT2_S4_PiS4_S7_S7_d21rocsparse_index_base_imNS_24const_host_device_scalarIfEENS9_IdEENS9_IS5_EEb.has_dyn_sized_stack, 0
	.set _ZN9rocsparseL12csrilu0_hashILj256ELj32ELj8E21rocsparse_complex_numIdEEEviPKiS4_PT2_S4_PiS4_S7_S7_d21rocsparse_index_base_imNS_24const_host_device_scalarIfEENS9_IdEENS9_IS5_EEb.has_recursion, 0
	.set _ZN9rocsparseL12csrilu0_hashILj256ELj32ELj8E21rocsparse_complex_numIdEEEviPKiS4_PT2_S4_PiS4_S7_S7_d21rocsparse_index_base_imNS_24const_host_device_scalarIfEENS9_IdEENS9_IS5_EEb.has_indirect_call, 0
	.section	.AMDGPU.csdata,"",@progbits
; Kernel info:
; codeLenInByte = 3180
; TotalNumSgprs: 68
; NumVgprs: 38
; NumAgprs: 0
; TotalNumVgprs: 38
; ScratchSize: 16
; MemoryBound: 0
; FloatMode: 240
; IeeeMode: 1
; LDSByteSize: 16384 bytes/workgroup (compile time only)
; SGPRBlocks: 8
; VGPRBlocks: 4
; NumSGPRsForWavesPerEU: 68
; NumVGPRsForWavesPerEU: 38
; AccumOffset: 40
; Occupancy: 8
; WaveLimiterHint : 1
; COMPUTE_PGM_RSRC2:SCRATCH_EN: 1
; COMPUTE_PGM_RSRC2:USER_SGPR: 2
; COMPUTE_PGM_RSRC2:TRAP_HANDLER: 0
; COMPUTE_PGM_RSRC2:TGID_X_EN: 1
; COMPUTE_PGM_RSRC2:TGID_Y_EN: 0
; COMPUTE_PGM_RSRC2:TGID_Z_EN: 0
; COMPUTE_PGM_RSRC2:TIDIG_COMP_CNT: 0
; COMPUTE_PGM_RSRC3_GFX90A:ACCUM_OFFSET: 9
; COMPUTE_PGM_RSRC3_GFX90A:TG_SPLIT: 0
	.section	.text._ZN9rocsparseL12csrilu0_hashILj256ELj32ELj16E21rocsparse_complex_numIdEEEviPKiS4_PT2_S4_PiS4_S7_S7_d21rocsparse_index_base_imNS_24const_host_device_scalarIfEENS9_IdEENS9_IS5_EEb,"axG",@progbits,_ZN9rocsparseL12csrilu0_hashILj256ELj32ELj16E21rocsparse_complex_numIdEEEviPKiS4_PT2_S4_PiS4_S7_S7_d21rocsparse_index_base_imNS_24const_host_device_scalarIfEENS9_IdEENS9_IS5_EEb,comdat
	.globl	_ZN9rocsparseL12csrilu0_hashILj256ELj32ELj16E21rocsparse_complex_numIdEEEviPKiS4_PT2_S4_PiS4_S7_S7_d21rocsparse_index_base_imNS_24const_host_device_scalarIfEENS9_IdEENS9_IS5_EEb ; -- Begin function _ZN9rocsparseL12csrilu0_hashILj256ELj32ELj16E21rocsparse_complex_numIdEEEviPKiS4_PT2_S4_PiS4_S7_S7_d21rocsparse_index_base_imNS_24const_host_device_scalarIfEENS9_IdEENS9_IS5_EEb
	.p2align	8
	.type	_ZN9rocsparseL12csrilu0_hashILj256ELj32ELj16E21rocsparse_complex_numIdEEEviPKiS4_PT2_S4_PiS4_S7_S7_d21rocsparse_index_base_imNS_24const_host_device_scalarIfEENS9_IdEENS9_IS5_EEb,@function
_ZN9rocsparseL12csrilu0_hashILj256ELj32ELj16E21rocsparse_complex_numIdEEEviPKiS4_PT2_S4_PiS4_S7_S7_d21rocsparse_index_base_imNS_24const_host_device_scalarIfEENS9_IdEENS9_IS5_EEb: ; @_ZN9rocsparseL12csrilu0_hashILj256ELj32ELj16E21rocsparse_complex_numIdEEEviPKiS4_PT2_S4_PiS4_S7_S7_d21rocsparse_index_base_imNS_24const_host_device_scalarIfEENS9_IdEENS9_IS5_EEb
; %bb.0:
	s_load_dword s3, s[0:1], 0x80
	s_load_dwordx8 s[24:31], s[0:1], 0x58
	s_load_dwordx2 s[4:5], s[0:1], 0x78
	s_load_dwordx2 s[34:35], s[0:1], 0x50
	s_waitcnt lgkmcnt(0)
	s_bitcmp1_b32 s3, 0
	s_cselect_b64 s[8:9], -1, 0
	v_mov_b64_e32 v[2:3], s[30:31]
	s_cmp_eq_u32 s35, 0
	s_cselect_b64 s[14:15], -1, 0
	s_cmp_lg_u32 s35, 0
	s_cselect_b64 s[10:11], -1, 0
	s_or_b64 s[16:17], s[14:15], s[8:9]
	s_xor_b64 s[6:7], s[16:17], -1
	s_and_b64 s[12:13], s[14:15], exec
	s_cselect_b32 s13, 0, s29
	s_cselect_b32 s12, 0, s28
	s_and_b64 vcc, exec, s[16:17]
	scratch_store_dwordx2 off, v[2:3], off
	s_cbranch_vccnz .LBB44_2
; %bb.1:
	s_load_dword s3, s[26:27], 0x0
	s_mov_b64 s[12:13], s[28:29]
	s_waitcnt lgkmcnt(0)
	v_mov_b32_e32 v23, s3
	s_andn2_b64 vcc, exec, s[6:7]
	v_mov_b64_e32 v[12:13], s[12:13]
	s_cbranch_vccz .LBB44_3
	s_branch .LBB44_4
.LBB44_2:
	v_mov_b32_e32 v1, s26
	v_cndmask_b32_e64 v23, v1, 0, s[14:15]
	s_andn2_b64 vcc, exec, s[6:7]
	v_mov_b64_e32 v[12:13], s[12:13]
	s_cbranch_vccnz .LBB44_4
.LBB44_3:
	v_mov_b64_e32 v[2:3], s[28:29]
	flat_load_dwordx2 v[12:13], v[2:3]
.LBB44_4:
	v_cndmask_b32_e64 v1, 0, 1, s[10:11]
	v_mov_b64_e32 v[28:29], 0
	v_cmp_ne_u32_e64 s[6:7], 1, v1
	s_andn2_b64 vcc, exec, s[10:11]
	v_mov_b64_e32 v[26:27], 0
	s_cbranch_vccnz .LBB44_7
; %bb.5:
	s_xor_b64 s[12:13], s[8:9], -1
	s_mov_b64 s[10:11], src_private_base
	s_and_b64 s[8:9], s[8:9], exec
	s_cselect_b32 s3, s11, s31
	s_cselect_b32 s8, 0, s30
	v_mov_b32_e32 v2, s8
	v_mov_b32_e32 v3, s3
	flat_load_dwordx2 v[26:27], v[2:3]
	s_andn2_b64 vcc, exec, s[12:13]
	v_mov_b64_e32 v[28:29], s[4:5]
	s_cbranch_vccnz .LBB44_7
; %bb.6:
	v_mov_b64_e32 v[2:3], s[30:31]
	flat_load_dwordx2 v[28:29], v[2:3] offset:8
.LBB44_7:
	v_and_b32_e32 v22, 31, v0
	v_lshrrev_b32_e32 v1, 5, v0
	v_lshlrev_b32_e32 v3, 11, v1
	v_lshlrev_b32_e32 v4, 2, v22
	s_movk_i32 s3, 0x4000
	v_or_b32_e32 v2, 0xffffffe0, v22
	v_or3_b32 v3, v3, v4, s3
	s_mov_b64 s[4:5], 0
	v_mov_b32_e32 v4, -1
	s_movk_i32 s3, 0x1df
.LBB44_8:                               ; =>This Inner Loop Header: Depth=1
	v_add_u32_e32 v2, 32, v2
	v_cmp_lt_u32_e32 vcc, s3, v2
	ds_write_b32 v3, v4
	s_or_b64 s[4:5], vcc, s[4:5]
	v_add_u32_e32 v3, 0x80, v3
	s_andn2_b64 exec, exec, s[4:5]
	s_cbranch_execnz .LBB44_8
; %bb.9:
	s_or_b64 exec, exec, s[4:5]
	s_load_dword s3, s[0:1], 0x0
	s_lshl_b32 s2, s2, 3
	s_and_b32 s2, s2, 0x7fffff8
	v_or_b32_e32 v1, s2, v1
	s_waitcnt lgkmcnt(0)
	v_cmp_gt_i32_e32 vcc, s3, v1
	s_and_saveexec_b64 s[2:3], vcc
	s_cbranch_execz .LBB44_87
; %bb.10:
	s_load_dwordx16 s[8:23], s[0:1], 0x8
	v_lshlrev_b32_e32 v1, 2, v1
	v_lshlrev_b32_e32 v0, 6, v0
	v_and_b32_e32 v15, 0x3800, v0
	v_or_b32_e32 v24, 0x4000, v15
	s_waitcnt lgkmcnt(0)
	global_load_dword v10, v1, s[18:19]
	s_waitcnt vmcnt(0)
	v_ashrrev_i32_e32 v11, 31, v10
	v_lshlrev_b64 v[2:3], 2, v[10:11]
	v_lshl_add_u64 v[4:5], s[8:9], 0, v[2:3]
	global_load_dwordx2 v[4:5], v[4:5], off
	v_lshl_add_u64 v[2:3], s[14:15], 0, v[2:3]
	global_load_dword v14, v[2:3], off
	s_waitcnt vmcnt(1)
	v_subrev_u32_e32 v16, s34, v4
	v_subrev_u32_e32 v2, s34, v5
	v_add_u32_e32 v0, v16, v22
	v_cmp_lt_i32_e32 vcc, v0, v2
	s_and_saveexec_b64 s[2:3], vcc
	s_cbranch_execz .LBB44_33
; %bb.11:
	s_mov_b64 s[4:5], 0
	s_movk_i32 s33, 0x67
	v_mov_b32_e32 v3, -1
	s_branch .LBB44_13
.LBB44_12:                              ;   in Loop: Header=BB44_13 Depth=1
	s_or_b64 exec, exec, s[18:19]
	v_add_u32_e32 v0, 32, v0
	v_cmp_ge_i32_e32 vcc, v0, v2
	s_or_b64 s[4:5], vcc, s[4:5]
	s_andn2_b64 exec, exec, s[4:5]
	s_cbranch_execz .LBB44_33
.LBB44_13:                              ; =>This Loop Header: Depth=1
                                        ;     Child Loop BB44_22 Depth 2
	v_ashrrev_i32_e32 v1, 31, v0
	v_lshl_add_u64 v[4:5], v[0:1], 2, s[10:11]
	global_load_dword v1, v[4:5], off
	v_mov_b32_e32 v4, 0x200
	s_mov_b64 s[26:27], 0
                                        ; implicit-def: $sgpr18_sgpr19
                                        ; implicit-def: $sgpr28_sgpr29
                                        ; implicit-def: $sgpr30_sgpr31
	s_waitcnt vmcnt(0)
	v_mul_lo_u32 v6, v1, s33
	s_branch .LBB44_22
.LBB44_14:                              ;   in Loop: Header=BB44_22 Depth=2
	s_or_b64 exec, exec, s[54:55]
	s_orn2_b64 s[50:51], s[50:51], exec
	s_orn2_b64 s[52:53], s[52:53], exec
.LBB44_15:                              ;   in Loop: Header=BB44_22 Depth=2
	s_or_b64 exec, exec, s[48:49]
	s_and_b64 s[50:51], s[50:51], exec
	s_orn2_b64 s[48:49], s[52:53], exec
.LBB44_16:                              ;   in Loop: Header=BB44_22 Depth=2
	s_or_b64 exec, exec, s[46:47]
	s_orn2_b64 s[50:51], s[50:51], exec
	s_orn2_b64 s[46:47], s[48:49], exec
.LBB44_17:                              ;   in Loop: Header=BB44_22 Depth=2
	s_or_b64 exec, exec, s[44:45]
	s_and_b64 s[48:49], s[50:51], exec
	s_orn2_b64 s[44:45], s[46:47], exec
.LBB44_18:                              ;   in Loop: Header=BB44_22 Depth=2
	s_or_b64 exec, exec, s[42:43]
	s_orn2_b64 s[42:43], s[48:49], exec
	s_orn2_b64 s[44:45], s[44:45], exec
.LBB44_19:                              ;   in Loop: Header=BB44_22 Depth=2
	s_or_b64 exec, exec, s[40:41]
	s_and_b64 s[42:43], s[42:43], exec
	s_orn2_b64 s[40:41], s[44:45], exec
.LBB44_20:                              ;   in Loop: Header=BB44_22 Depth=2
	s_or_b64 exec, exec, s[38:39]
	s_andn2_b64 s[30:31], s[30:31], exec
	s_and_b64 s[38:39], s[42:43], exec
	s_or_b64 s[30:31], s[30:31], s[38:39]
	s_andn2_b64 s[28:29], s[28:29], exec
	s_and_b64 s[38:39], s[40:41], exec
	s_or_b64 s[28:29], s[28:29], s[38:39]
.LBB44_21:                              ;   in Loop: Header=BB44_22 Depth=2
	s_or_b64 exec, exec, s[36:37]
	s_and_b64 s[36:37], exec, s[28:29]
	s_or_b64 s[26:27], s[36:37], s[26:27]
	s_andn2_b64 s[18:19], s[18:19], exec
	s_and_b64 s[36:37], s[30:31], exec
	s_or_b64 s[18:19], s[18:19], s[36:37]
	s_andn2_b64 exec, exec, s[26:27]
	s_cbranch_execz .LBB44_31
.LBB44_22:                              ;   Parent Loop BB44_13 Depth=1
                                        ; =>  This Inner Loop Header: Depth=2
	v_and_b32_e32 v5, 0x1ff, v6
	v_lshl_add_u32 v7, v5, 2, v24
	ds_read_b32 v8, v7
	s_or_b64 s[30:31], s[30:31], exec
	s_or_b64 s[28:29], s[28:29], exec
	s_waitcnt lgkmcnt(0)
	v_cmp_ne_u32_e32 vcc, v8, v1
	s_and_saveexec_b64 s[36:37], vcc
	s_cbranch_execz .LBB44_21
; %bb.23:                               ;   in Loop: Header=BB44_22 Depth=2
	ds_cmpst_rtn_b32 v7, v7, v3, v1
	s_mov_b64 s[40:41], -1
	s_mov_b64 s[42:43], 0
	s_waitcnt lgkmcnt(0)
	v_cmp_ne_u32_e32 vcc, -1, v7
	s_and_saveexec_b64 s[38:39], vcc
	s_cbranch_execz .LBB44_20
; %bb.24:                               ;   in Loop: Header=BB44_22 Depth=2
	v_add_u32_e32 v5, 1, v6
	v_and_b32_e32 v5, 0x1ff, v5
	v_lshl_add_u32 v7, v5, 2, v24
	ds_read_b32 v8, v7
	s_mov_b64 s[44:45], -1
	s_mov_b64 s[42:43], -1
	s_waitcnt lgkmcnt(0)
	v_cmp_ne_u32_e32 vcc, v8, v1
	s_and_saveexec_b64 s[40:41], vcc
	s_cbranch_execz .LBB44_19
; %bb.25:                               ;   in Loop: Header=BB44_22 Depth=2
	ds_cmpst_rtn_b32 v7, v7, v3, v1
	s_mov_b64 s[48:49], 0
	s_waitcnt lgkmcnt(0)
	v_cmp_ne_u32_e32 vcc, -1, v7
	s_and_saveexec_b64 s[42:43], vcc
	s_cbranch_execz .LBB44_18
; %bb.26:                               ;   in Loop: Header=BB44_22 Depth=2
	v_add_u32_e32 v5, 2, v6
	v_and_b32_e32 v5, 0x1ff, v5
	v_lshl_add_u32 v7, v5, 2, v24
	ds_read_b32 v8, v7
	s_mov_b64 s[46:47], -1
	s_mov_b64 s[50:51], -1
	s_waitcnt lgkmcnt(0)
	v_cmp_ne_u32_e32 vcc, v8, v1
	s_and_saveexec_b64 s[44:45], vcc
	s_cbranch_execz .LBB44_17
; %bb.27:                               ;   in Loop: Header=BB44_22 Depth=2
	ds_cmpst_rtn_b32 v7, v7, v3, v1
	s_mov_b64 s[48:49], -1
	s_mov_b64 s[50:51], 0
	s_waitcnt lgkmcnt(0)
	v_cmp_ne_u32_e32 vcc, -1, v7
	s_and_saveexec_b64 s[46:47], vcc
	s_cbranch_execz .LBB44_16
; %bb.28:                               ;   in Loop: Header=BB44_22 Depth=2
	v_add_u32_e32 v5, 3, v6
	v_and_b32_e32 v5, 0x1ff, v5
	v_lshl_add_u32 v7, v5, 2, v24
	ds_read_b32 v6, v7
	s_mov_b64 s[52:53], -1
	s_mov_b64 s[50:51], -1
	s_waitcnt lgkmcnt(0)
	v_cmp_ne_u32_e32 vcc, v6, v1
                                        ; implicit-def: $vgpr6
	s_and_saveexec_b64 s[48:49], vcc
	s_cbranch_execz .LBB44_15
; %bb.29:                               ;   in Loop: Header=BB44_22 Depth=2
	ds_cmpst_rtn_b32 v6, v7, v3, v1
	s_mov_b64 s[50:51], 0
	s_waitcnt lgkmcnt(0)
	v_cmp_ne_u32_e32 vcc, -1, v6
                                        ; implicit-def: $vgpr6
	s_and_saveexec_b64 s[54:55], vcc
	s_cbranch_execz .LBB44_14
; %bb.30:                               ;   in Loop: Header=BB44_22 Depth=2
	v_add_u32_e32 v4, -4, v4
	v_cmp_eq_u32_e32 vcc, 0, v4
	s_mov_b64 s[50:51], exec
	v_add_u32_e32 v6, 1, v5
	s_orn2_b64 s[52:53], vcc, exec
	s_branch .LBB44_14
.LBB44_31:                              ;   in Loop: Header=BB44_13 Depth=1
	s_or_b64 exec, exec, s[26:27]
	s_xor_b64 s[18:19], s[18:19], -1
	s_and_saveexec_b64 s[26:27], s[18:19]
	s_xor_b64 s[18:19], exec, s[26:27]
	s_cbranch_execz .LBB44_12
; %bb.32:                               ;   in Loop: Header=BB44_13 Depth=1
	v_lshl_add_u32 v1, v5, 2, v15
	ds_write_b32 v1, v0
	s_branch .LBB44_12
.LBB44_33:
	s_or_b64 exec, exec, s[2:3]
	s_waitcnt vmcnt(0)
	v_cmp_lt_i32_e32 vcc, v16, v14
	s_waitcnt lgkmcnt(0)
	s_and_saveexec_b64 s[4:5], vcc
	s_cbranch_execz .LBB44_63
; %bb.34:
	v_add_u32_e32 v25, 1, v22
	s_mov_b64 s[18:19], 0
	s_movk_i32 s33, 0x67
	s_branch .LBB44_37
.LBB44_35:                              ;   in Loop: Header=BB44_37 Depth=1
	s_or_b64 exec, exec, s[26:27]
	v_add_u32_e32 v16, 1, v16
	v_cmp_ge_i32_e32 vcc, v16, v14
	s_orn2_b64 s[26:27], vcc, exec
.LBB44_36:                              ;   in Loop: Header=BB44_37 Depth=1
	s_or_b64 exec, exec, s[2:3]
	s_and_b64 s[2:3], exec, s[26:27]
	s_or_b64 s[18:19], s[2:3], s[18:19]
	s_andn2_b64 exec, exec, s[18:19]
	s_cbranch_execz .LBB44_63
.LBB44_37:                              ; =>This Loop Header: Depth=1
                                        ;     Child Loop BB44_38 Depth 2
                                        ;     Child Loop BB44_43 Depth 2
                                        ;       Child Loop BB44_52 Depth 3
	v_ashrrev_i32_e32 v17, 31, v16
	v_lshl_add_u64 v[0:1], v[16:17], 2, s[10:11]
	global_load_dword v0, v[0:1], off
	v_lshl_add_u64 v[18:19], v[16:17], 4, s[12:13]
	global_load_dwordx4 v[2:5], v[18:19], off
	s_mov_b64 s[2:3], 0
	s_waitcnt vmcnt(1)
	v_subrev_u32_e32 v0, s34, v0
	v_ashrrev_i32_e32 v1, 31, v0
	v_lshlrev_b64 v[0:1], 2, v[0:1]
	v_lshl_add_u64 v[8:9], s[8:9], 0, v[0:1]
	v_lshl_add_u64 v[20:21], s[14:15], 0, v[0:1]
	global_load_dword v7, v[8:9], off offset:4
	global_load_dword v6, v[20:21], off
	v_lshl_add_u64 v[0:1], s[16:17], 0, v[0:1]
.LBB44_38:                              ;   Parent Loop BB44_37 Depth=1
                                        ; =>  This Inner Loop Header: Depth=2
	global_load_dword v8, v[0:1], off sc1
	s_waitcnt vmcnt(0)
	v_cmp_ne_u32_e32 vcc, 0, v8
	s_or_b64 s[2:3], vcc, s[2:3]
	s_andn2_b64 exec, exec, s[2:3]
	s_cbranch_execnz .LBB44_38
; %bb.39:                               ;   in Loop: Header=BB44_37 Depth=1
	s_or_b64 exec, exec, s[2:3]
	v_subrev_u32_e32 v17, s34, v7
	v_add_u32_e32 v0, -1, v17
	v_cmp_eq_u32_e32 vcc, -1, v6
	buffer_inv sc1
	s_mov_b64 s[26:27], -1
	v_cndmask_b32_e32 v20, v6, v0, vcc
	v_ashrrev_i32_e32 v21, 31, v20
	v_lshl_add_u64 v[0:1], v[20:21], 4, s[12:13]
	global_load_dwordx4 v[6:9], v[0:1], off
	s_waitcnt vmcnt(0)
	v_cmp_neq_f64_e32 vcc, 0, v[6:7]
	v_cmp_neq_f64_e64 s[2:3], 0, v[8:9]
	s_or_b64 s[28:29], vcc, s[2:3]
	s_and_saveexec_b64 s[2:3], s[28:29]
	s_cbranch_execz .LBB44_36
; %bb.40:                               ;   in Loop: Header=BB44_37 Depth=1
	v_mul_f64 v[0:1], v[8:9], v[8:9]
	v_fmac_f64_e32 v[0:1], v[6:7], v[6:7]
	v_div_scale_f64 v[30:31], s[26:27], v[0:1], v[0:1], 1.0
	v_rcp_f64_e32 v[32:33], v[30:31]
	v_div_scale_f64 v[34:35], vcc, 1.0, v[0:1], 1.0
	v_fma_f64 v[36:37], -v[30:31], v[32:33], 1.0
	v_fmac_f64_e32 v[32:33], v[32:33], v[36:37]
	v_fma_f64 v[36:37], -v[30:31], v[32:33], 1.0
	v_fmac_f64_e32 v[32:33], v[32:33], v[36:37]
	v_mul_f64 v[36:37], v[34:35], v[32:33]
	v_fma_f64 v[30:31], -v[30:31], v[36:37], v[34:35]
	v_div_fmas_f64 v[30:31], v[30:31], v[32:33], v[36:37]
	v_div_fixup_f64 v[30:31], v[30:31], v[0:1], 1.0
	v_mul_f64 v[0:1], v[4:5], v[8:9]
	v_fmac_f64_e32 v[0:1], v[2:3], v[6:7]
	v_mul_f64 v[2:3], v[8:9], -v[2:3]
	v_fmac_f64_e32 v[2:3], v[4:5], v[6:7]
	v_add_u32_e32 v4, v25, v20
	v_mul_f64 v[0:1], v[0:1], v[30:31]
	v_mul_f64 v[2:3], v[2:3], v[30:31]
	v_cmp_lt_i32_e32 vcc, v4, v17
	global_store_dwordx4 v[18:19], v[0:3], off
	s_and_saveexec_b64 s[26:27], vcc
	s_cbranch_execz .LBB44_35
; %bb.41:                               ;   in Loop: Header=BB44_37 Depth=1
	s_mov_b64 s[28:29], 0
	s_branch .LBB44_43
.LBB44_42:                              ;   in Loop: Header=BB44_43 Depth=2
	s_or_b64 exec, exec, s[30:31]
	v_add_u32_e32 v4, 32, v4
	v_cmp_ge_i32_e32 vcc, v4, v17
	s_or_b64 s[28:29], vcc, s[28:29]
	s_andn2_b64 exec, exec, s[28:29]
	s_cbranch_execz .LBB44_35
.LBB44_43:                              ;   Parent Loop BB44_37 Depth=1
                                        ; =>  This Loop Header: Depth=2
                                        ;       Child Loop BB44_52 Depth 3
	v_ashrrev_i32_e32 v5, 31, v4
	v_lshl_add_u64 v[6:7], v[4:5], 2, s[10:11]
	global_load_dword v6, v[6:7], off
	v_mov_b32_e32 v7, 0x200
	s_mov_b64 s[36:37], 0
                                        ; implicit-def: $sgpr30_sgpr31
                                        ; implicit-def: $sgpr38_sgpr39
                                        ; implicit-def: $sgpr40_sgpr41
	s_waitcnt vmcnt(0)
	v_mul_lo_u32 v9, v6, s33
	s_branch .LBB44_52
.LBB44_44:                              ;   in Loop: Header=BB44_52 Depth=3
	s_or_b64 exec, exec, s[60:61]
	s_orn2_b64 s[56:57], s[56:57], exec
	s_orn2_b64 s[58:59], s[58:59], exec
.LBB44_45:                              ;   in Loop: Header=BB44_52 Depth=3
	s_or_b64 exec, exec, s[54:55]
	s_and_b64 s[56:57], s[56:57], exec
	s_orn2_b64 s[54:55], s[58:59], exec
.LBB44_46:                              ;   in Loop: Header=BB44_52 Depth=3
	s_or_b64 exec, exec, s[52:53]
	s_orn2_b64 s[56:57], s[56:57], exec
	s_orn2_b64 s[52:53], s[54:55], exec
.LBB44_47:                              ;   in Loop: Header=BB44_52 Depth=3
	s_or_b64 exec, exec, s[50:51]
	s_and_b64 s[54:55], s[56:57], exec
	s_orn2_b64 s[50:51], s[52:53], exec
.LBB44_48:                              ;   in Loop: Header=BB44_52 Depth=3
	s_or_b64 exec, exec, s[48:49]
	s_orn2_b64 s[48:49], s[54:55], exec
	s_orn2_b64 s[50:51], s[50:51], exec
.LBB44_49:                              ;   in Loop: Header=BB44_52 Depth=3
	s_or_b64 exec, exec, s[46:47]
	s_and_b64 s[48:49], s[48:49], exec
	s_orn2_b64 s[46:47], s[50:51], exec
.LBB44_50:                              ;   in Loop: Header=BB44_52 Depth=3
	s_or_b64 exec, exec, s[44:45]
	s_andn2_b64 s[40:41], s[40:41], exec
	s_and_b64 s[44:45], s[48:49], exec
	s_or_b64 s[40:41], s[40:41], s[44:45]
	s_andn2_b64 s[38:39], s[38:39], exec
	s_and_b64 s[44:45], s[46:47], exec
	s_or_b64 s[38:39], s[38:39], s[44:45]
.LBB44_51:                              ;   in Loop: Header=BB44_52 Depth=3
	s_or_b64 exec, exec, s[42:43]
	s_and_b64 s[42:43], exec, s[38:39]
	s_or_b64 s[36:37], s[42:43], s[36:37]
	s_andn2_b64 s[30:31], s[30:31], exec
	s_and_b64 s[42:43], s[40:41], exec
	s_or_b64 s[30:31], s[30:31], s[42:43]
	s_andn2_b64 exec, exec, s[36:37]
	s_cbranch_execz .LBB44_61
.LBB44_52:                              ;   Parent Loop BB44_37 Depth=1
                                        ;     Parent Loop BB44_43 Depth=2
                                        ; =>    This Inner Loop Header: Depth=3
	v_and_b32_e32 v8, 0x1ff, v9
	v_lshl_add_u32 v18, v8, 2, v24
	ds_read_b32 v18, v18
	s_or_b64 s[40:41], s[40:41], exec
	s_or_b64 s[38:39], s[38:39], exec
	s_waitcnt lgkmcnt(0)
	v_cmp_ne_u32_e32 vcc, -1, v18
	s_and_saveexec_b64 s[42:43], vcc
	s_cbranch_execz .LBB44_51
; %bb.53:                               ;   in Loop: Header=BB44_52 Depth=3
	v_cmp_ne_u32_e32 vcc, v18, v6
	s_mov_b64 s[46:47], -1
	s_mov_b64 s[48:49], 0
	s_and_saveexec_b64 s[44:45], vcc
	s_cbranch_execz .LBB44_50
; %bb.54:                               ;   in Loop: Header=BB44_52 Depth=3
	v_add_u32_e32 v8, 1, v9
	v_and_b32_e32 v8, 0x1ff, v8
	v_lshl_add_u32 v18, v8, 2, v24
	ds_read_b32 v18, v18
	s_mov_b64 s[50:51], -1
	s_mov_b64 s[48:49], -1
	s_waitcnt lgkmcnt(0)
	v_cmp_ne_u32_e32 vcc, -1, v18
	s_and_saveexec_b64 s[46:47], vcc
	s_cbranch_execz .LBB44_49
; %bb.55:                               ;   in Loop: Header=BB44_52 Depth=3
	v_cmp_ne_u32_e32 vcc, v18, v6
	s_mov_b64 s[54:55], 0
	s_and_saveexec_b64 s[48:49], vcc
	s_cbranch_execz .LBB44_48
; %bb.56:                               ;   in Loop: Header=BB44_52 Depth=3
	v_add_u32_e32 v8, 2, v9
	v_and_b32_e32 v8, 0x1ff, v8
	v_lshl_add_u32 v18, v8, 2, v24
	ds_read_b32 v18, v18
	s_mov_b64 s[52:53], -1
	s_mov_b64 s[56:57], -1
	s_waitcnt lgkmcnt(0)
	v_cmp_ne_u32_e32 vcc, -1, v18
	s_and_saveexec_b64 s[50:51], vcc
	s_cbranch_execz .LBB44_47
; %bb.57:                               ;   in Loop: Header=BB44_52 Depth=3
	v_cmp_ne_u32_e32 vcc, v18, v6
	s_mov_b64 s[54:55], -1
	s_mov_b64 s[56:57], 0
	s_and_saveexec_b64 s[52:53], vcc
	s_cbranch_execz .LBB44_46
; %bb.58:                               ;   in Loop: Header=BB44_52 Depth=3
	v_add_u32_e32 v8, 3, v9
	v_and_b32_e32 v8, 0x1ff, v8
	v_lshl_add_u32 v9, v8, 2, v24
	ds_read_b32 v18, v9
	s_mov_b64 s[58:59], -1
	s_mov_b64 s[56:57], -1
                                        ; implicit-def: $vgpr9
	s_waitcnt lgkmcnt(0)
	v_cmp_ne_u32_e32 vcc, -1, v18
	s_and_saveexec_b64 s[54:55], vcc
	s_cbranch_execz .LBB44_45
; %bb.59:                               ;   in Loop: Header=BB44_52 Depth=3
	v_cmp_ne_u32_e32 vcc, v18, v6
	s_mov_b64 s[56:57], 0
                                        ; implicit-def: $vgpr9
	s_and_saveexec_b64 s[60:61], vcc
	s_cbranch_execz .LBB44_44
; %bb.60:                               ;   in Loop: Header=BB44_52 Depth=3
	v_add_u32_e32 v7, -4, v7
	v_cmp_eq_u32_e32 vcc, 0, v7
	s_mov_b64 s[56:57], exec
	v_add_u32_e32 v9, 1, v8
	s_orn2_b64 s[58:59], vcc, exec
	s_branch .LBB44_44
.LBB44_61:                              ;   in Loop: Header=BB44_43 Depth=2
	s_or_b64 exec, exec, s[36:37]
	s_xor_b64 s[30:31], s[30:31], -1
	s_and_saveexec_b64 s[36:37], s[30:31]
	s_xor_b64 s[30:31], exec, s[36:37]
	s_cbranch_execz .LBB44_42
; %bb.62:                               ;   in Loop: Header=BB44_43 Depth=2
	v_lshl_add_u32 v6, v8, 2, v15
	ds_read_b32 v6, v6
	v_lshl_add_u64 v[30:31], v[4:5], 4, s[12:13]
	s_waitcnt lgkmcnt(0)
	v_ashrrev_i32_e32 v7, 31, v6
	v_lshl_add_u64 v[32:33], v[6:7], 4, s[12:13]
	global_load_dwordx4 v[6:9], v[30:31], off
	global_load_dwordx4 v[18:21], v[32:33], off
	s_waitcnt vmcnt(0)
	v_fma_f64 v[18:19], -v[0:1], v[6:7], v[18:19]
	v_fma_f64 v[6:7], -v[2:3], v[6:7], v[20:21]
	v_fmac_f64_e32 v[18:19], v[2:3], v[8:9]
	v_fma_f64 v[20:21], -v[0:1], v[8:9], v[6:7]
	global_store_dwordx4 v[32:33], v[18:21], off
	s_branch .LBB44_42
.LBB44_63:
	s_or_b64 exec, exec, s[4:5]
	v_cmp_lt_i32_e32 vcc, -1, v14
	s_and_saveexec_b64 s[2:3], vcc
	s_cbranch_execz .LBB44_85
; %bb.64:
	v_mov_b32_e32 v15, 0
	v_lshl_add_u64 v[4:5], v[14:15], 4, s[12:13]
	global_load_dwordx4 v[0:3], v[4:5], off
                                        ; implicit-def: $vgpr14_vgpr15
	s_waitcnt vmcnt(0)
	v_xor_b32_e32 v7, 0x80000000, v1
	v_cmp_gt_f64_e32 vcc, 0, v[0:1]
	v_xor_b32_e32 v8, 0x80000000, v3
	v_mov_b32_e32 v6, v0
	v_cndmask_b32_e32 v7, v1, v7, vcc
	v_cmp_gt_f64_e32 vcc, 0, v[2:3]
	s_nop 1
	v_cndmask_b32_e32 v9, v3, v8, vcc
	v_mov_b32_e32 v8, v2
	v_cmp_ngt_f64_e32 vcc, v[6:7], v[8:9]
	s_and_saveexec_b64 s[4:5], vcc
	s_xor_b64 s[4:5], exec, s[4:5]
	s_cbranch_execz .LBB44_68
; %bb.65:
	v_mov_b64_e32 v[14:15], 0
	v_cmp_neq_f64_e32 vcc, 0, v[2:3]
	s_and_saveexec_b64 s[8:9], vcc
	s_cbranch_execz .LBB44_67
; %bb.66:
	v_div_scale_f64 v[14:15], s[10:11], v[8:9], v[8:9], v[6:7]
	v_rcp_f64_e32 v[16:17], v[14:15]
	v_div_scale_f64 v[18:19], vcc, v[6:7], v[8:9], v[6:7]
	s_mov_b32 s10, 0
	v_fma_f64 v[20:21], -v[14:15], v[16:17], 1.0
	v_fmac_f64_e32 v[16:17], v[16:17], v[20:21]
	v_fma_f64 v[20:21], -v[14:15], v[16:17], 1.0
	v_fmac_f64_e32 v[16:17], v[16:17], v[20:21]
	v_mul_f64 v[20:21], v[18:19], v[16:17]
	v_fma_f64 v[14:15], -v[14:15], v[20:21], v[18:19]
	v_div_fmas_f64 v[14:15], v[14:15], v[16:17], v[20:21]
	v_div_fixup_f64 v[6:7], v[14:15], v[8:9], v[6:7]
	v_fma_f64 v[6:7], v[6:7], v[6:7], 1.0
	s_brev_b32 s11, 8
	v_mov_b32_e32 v14, 0x100
	v_cmp_gt_f64_e32 vcc, s[10:11], v[6:7]
	s_nop 1
	v_cndmask_b32_e32 v14, 0, v14, vcc
	v_ldexp_f64 v[6:7], v[6:7], v14
	v_rsq_f64_e32 v[14:15], v[6:7]
	s_nop 0
	v_mul_f64 v[16:17], v[6:7], v[14:15]
	v_mul_f64 v[14:15], v[14:15], 0.5
	v_fma_f64 v[18:19], -v[14:15], v[16:17], 0.5
	v_fmac_f64_e32 v[16:17], v[16:17], v[18:19]
	v_fma_f64 v[20:21], -v[16:17], v[16:17], v[6:7]
	v_fmac_f64_e32 v[14:15], v[14:15], v[18:19]
	v_fmac_f64_e32 v[16:17], v[20:21], v[14:15]
	v_fma_f64 v[18:19], -v[16:17], v[16:17], v[6:7]
	v_fmac_f64_e32 v[16:17], v[18:19], v[14:15]
	v_mov_b32_e32 v14, 0xffffff80
	v_cndmask_b32_e32 v14, 0, v14, vcc
	v_ldexp_f64 v[14:15], v[16:17], v14
	v_mov_b32_e32 v16, 0x260
	v_cmp_class_f64_e32 vcc, v[6:7], v16
	s_nop 1
	v_cndmask_b32_e32 v7, v15, v7, vcc
	v_cndmask_b32_e32 v6, v14, v6, vcc
	v_mul_f64 v[14:15], v[8:9], v[6:7]
.LBB44_67:
	s_or_b64 exec, exec, s[8:9]
                                        ; implicit-def: $vgpr6_vgpr7
                                        ; implicit-def: $vgpr8_vgpr9
.LBB44_68:
	s_andn2_saveexec_b64 s[4:5], s[4:5]
	s_cbranch_execz .LBB44_70
; %bb.69:
	v_div_scale_f64 v[14:15], s[8:9], v[6:7], v[6:7], v[8:9]
	v_rcp_f64_e32 v[16:17], v[14:15]
	v_div_scale_f64 v[18:19], vcc, v[8:9], v[6:7], v[8:9]
	s_mov_b32 s8, 0
	v_fma_f64 v[20:21], -v[14:15], v[16:17], 1.0
	v_fmac_f64_e32 v[16:17], v[16:17], v[20:21]
	v_fma_f64 v[20:21], -v[14:15], v[16:17], 1.0
	v_fmac_f64_e32 v[16:17], v[16:17], v[20:21]
	v_mul_f64 v[20:21], v[18:19], v[16:17]
	v_fma_f64 v[14:15], -v[14:15], v[20:21], v[18:19]
	v_div_fmas_f64 v[14:15], v[14:15], v[16:17], v[20:21]
	v_div_fixup_f64 v[8:9], v[14:15], v[6:7], v[8:9]
	v_fma_f64 v[8:9], v[8:9], v[8:9], 1.0
	s_brev_b32 s9, 8
	v_mov_b32_e32 v14, 0x100
	v_cmp_gt_f64_e32 vcc, s[8:9], v[8:9]
	s_nop 1
	v_cndmask_b32_e32 v14, 0, v14, vcc
	v_ldexp_f64 v[8:9], v[8:9], v14
	v_rsq_f64_e32 v[14:15], v[8:9]
	s_nop 0
	v_mul_f64 v[16:17], v[8:9], v[14:15]
	v_mul_f64 v[14:15], v[14:15], 0.5
	v_fma_f64 v[18:19], -v[14:15], v[16:17], 0.5
	v_fmac_f64_e32 v[16:17], v[16:17], v[18:19]
	v_fma_f64 v[20:21], -v[16:17], v[16:17], v[8:9]
	v_fmac_f64_e32 v[14:15], v[14:15], v[18:19]
	v_fmac_f64_e32 v[16:17], v[20:21], v[14:15]
	v_fma_f64 v[18:19], -v[16:17], v[16:17], v[8:9]
	v_fmac_f64_e32 v[16:17], v[18:19], v[14:15]
	v_mov_b32_e32 v14, 0xffffff80
	v_cndmask_b32_e32 v14, 0, v14, vcc
	v_ldexp_f64 v[14:15], v[16:17], v14
	v_mov_b32_e32 v16, 0x260
	v_cmp_class_f64_e32 vcc, v[8:9], v16
	s_nop 1
	v_cndmask_b32_e32 v9, v15, v9, vcc
	v_cndmask_b32_e32 v8, v14, v8, vcc
	v_mul_f64 v[14:15], v[6:7], v[8:9]
.LBB44_70:
	s_or_b64 exec, exec, s[4:5]
	v_cmp_eq_u32_e64 s[4:5], 0, v22
	s_and_b64 vcc, exec, s[6:7]
	s_mov_b64 s[6:7], -1
	s_cbranch_vccnz .LBB44_74
; %bb.71:
	s_cmp_eq_u64 s[24:25], 8
	v_cvt_f64_f32_e32 v[6:7], v23
	s_cselect_b64 vcc, -1, 0
	v_cndmask_b32_e32 v7, v7, v13, vcc
	v_cndmask_b32_e32 v6, v6, v12, vcc
	v_cmp_le_f64_e32 vcc, v[14:15], v[6:7]
	s_and_b64 s[8:9], s[4:5], vcc
	s_and_saveexec_b64 s[6:7], s[8:9]
	s_cbranch_execz .LBB44_73
; %bb.72:
	global_store_dwordx4 v[4:5], v[26:29], off
	buffer_wbl2 sc1
	s_waitcnt vmcnt(0)
	buffer_inv sc1
.LBB44_73:
	s_or_b64 exec, exec, s[6:7]
	s_mov_b64 s[6:7], 0
.LBB44_74:
	s_andn2_b64 vcc, exec, s[6:7]
	s_cbranch_vccnz .LBB44_85
; %bb.75:
	s_load_dwordx2 s[0:1], s[0:1], 0x48
	v_add_u32_e32 v4, s34, v10
	s_waitcnt lgkmcnt(0)
	v_cmp_ge_f64_e32 vcc, s[0:1], v[14:15]
	s_and_b64 s[6:7], s[4:5], vcc
	s_and_saveexec_b64 s[0:1], s[6:7]
	s_cbranch_execz .LBB44_80
; %bb.76:
	s_mov_b64 s[6:7], exec
	s_brev_b32 s8, -2
.LBB44_77:                              ; =>This Inner Loop Header: Depth=1
	s_ff1_i32_b64 s9, s[6:7]
	v_readlane_b32 s12, v4, s9
	s_lshl_b64 s[10:11], 1, s9
	s_min_i32 s8, s8, s12
	s_andn2_b64 s[6:7], s[6:7], s[10:11]
	s_cmp_lg_u64 s[6:7], 0
	s_cbranch_scc1 .LBB44_77
; %bb.78:
	v_mbcnt_lo_u32_b32 v5, exec_lo, 0
	v_mbcnt_hi_u32_b32 v5, exec_hi, v5
	v_cmp_eq_u32_e32 vcc, 0, v5
	s_and_saveexec_b64 s[6:7], vcc
	s_xor_b64 s[6:7], exec, s[6:7]
	s_cbranch_execz .LBB44_80
; %bb.79:
	v_mov_b32_e32 v5, 0
	v_mov_b32_e32 v6, s8
	global_atomic_smin v5, v6, s[22:23]
.LBB44_80:
	s_or_b64 exec, exec, s[0:1]
	v_cmp_eq_f64_e32 vcc, 0, v[0:1]
	v_cmp_eq_f64_e64 s[0:1], 0, v[2:3]
	s_and_b64 s[0:1], vcc, s[0:1]
	s_and_b64 s[0:1], s[4:5], s[0:1]
	s_and_b64 exec, exec, s[0:1]
	s_cbranch_execz .LBB44_85
; %bb.81:
	s_mov_b64 s[0:1], exec
	s_brev_b32 s4, -2
.LBB44_82:                              ; =>This Inner Loop Header: Depth=1
	s_ff1_i32_b64 s5, s[0:1]
	v_readlane_b32 s8, v4, s5
	s_lshl_b64 s[6:7], 1, s5
	s_min_i32 s4, s4, s8
	s_andn2_b64 s[0:1], s[0:1], s[6:7]
	s_cmp_lg_u64 s[0:1], 0
	s_cbranch_scc1 .LBB44_82
; %bb.83:
	v_mbcnt_lo_u32_b32 v0, exec_lo, 0
	v_mbcnt_hi_u32_b32 v0, exec_hi, v0
	v_cmp_eq_u32_e32 vcc, 0, v0
	s_and_saveexec_b64 s[0:1], vcc
	s_xor_b64 s[0:1], exec, s[0:1]
	s_cbranch_execz .LBB44_85
; %bb.84:
	v_mov_b32_e32 v0, 0
	v_mov_b32_e32 v1, s4
	global_atomic_smin v0, v1, s[20:21]
.LBB44_85:
	s_or_b64 exec, exec, s[2:3]
	v_cmp_eq_u32_e32 vcc, 0, v22
	buffer_wbl2 sc1
	s_waitcnt vmcnt(0)
	buffer_inv sc1
	s_and_b64 exec, exec, vcc
	s_cbranch_execz .LBB44_87
; %bb.86:
	v_lshl_add_u64 v[0:1], v[10:11], 2, s[16:17]
	v_mov_b32_e32 v2, 1
	buffer_wbl2 sc1
	global_store_dword v[0:1], v2, off sc1
.LBB44_87:
	s_endpgm
	.section	.rodata,"a",@progbits
	.p2align	6, 0x0
	.amdhsa_kernel _ZN9rocsparseL12csrilu0_hashILj256ELj32ELj16E21rocsparse_complex_numIdEEEviPKiS4_PT2_S4_PiS4_S7_S7_d21rocsparse_index_base_imNS_24const_host_device_scalarIfEENS9_IdEENS9_IS5_EEb
		.amdhsa_group_segment_fixed_size 32768
		.amdhsa_private_segment_fixed_size 16
		.amdhsa_kernarg_size 132
		.amdhsa_user_sgpr_count 2
		.amdhsa_user_sgpr_dispatch_ptr 0
		.amdhsa_user_sgpr_queue_ptr 0
		.amdhsa_user_sgpr_kernarg_segment_ptr 1
		.amdhsa_user_sgpr_dispatch_id 0
		.amdhsa_user_sgpr_kernarg_preload_length 0
		.amdhsa_user_sgpr_kernarg_preload_offset 0
		.amdhsa_user_sgpr_private_segment_size 0
		.amdhsa_uses_dynamic_stack 0
		.amdhsa_enable_private_segment 1
		.amdhsa_system_sgpr_workgroup_id_x 1
		.amdhsa_system_sgpr_workgroup_id_y 0
		.amdhsa_system_sgpr_workgroup_id_z 0
		.amdhsa_system_sgpr_workgroup_info 0
		.amdhsa_system_vgpr_workitem_id 0
		.amdhsa_next_free_vgpr 81
		.amdhsa_next_free_sgpr 96
		.amdhsa_accum_offset 40
		.amdhsa_reserve_vcc 1
		.amdhsa_float_round_mode_32 0
		.amdhsa_float_round_mode_16_64 0
		.amdhsa_float_denorm_mode_32 3
		.amdhsa_float_denorm_mode_16_64 3
		.amdhsa_dx10_clamp 1
		.amdhsa_ieee_mode 1
		.amdhsa_fp16_overflow 0
		.amdhsa_tg_split 0
		.amdhsa_exception_fp_ieee_invalid_op 0
		.amdhsa_exception_fp_denorm_src 0
		.amdhsa_exception_fp_ieee_div_zero 0
		.amdhsa_exception_fp_ieee_overflow 0
		.amdhsa_exception_fp_ieee_underflow 0
		.amdhsa_exception_fp_ieee_inexact 0
		.amdhsa_exception_int_div_zero 0
	.end_amdhsa_kernel
	.section	.text._ZN9rocsparseL12csrilu0_hashILj256ELj32ELj16E21rocsparse_complex_numIdEEEviPKiS4_PT2_S4_PiS4_S7_S7_d21rocsparse_index_base_imNS_24const_host_device_scalarIfEENS9_IdEENS9_IS5_EEb,"axG",@progbits,_ZN9rocsparseL12csrilu0_hashILj256ELj32ELj16E21rocsparse_complex_numIdEEEviPKiS4_PT2_S4_PiS4_S7_S7_d21rocsparse_index_base_imNS_24const_host_device_scalarIfEENS9_IdEENS9_IS5_EEb,comdat
.Lfunc_end44:
	.size	_ZN9rocsparseL12csrilu0_hashILj256ELj32ELj16E21rocsparse_complex_numIdEEEviPKiS4_PT2_S4_PiS4_S7_S7_d21rocsparse_index_base_imNS_24const_host_device_scalarIfEENS9_IdEENS9_IS5_EEb, .Lfunc_end44-_ZN9rocsparseL12csrilu0_hashILj256ELj32ELj16E21rocsparse_complex_numIdEEEviPKiS4_PT2_S4_PiS4_S7_S7_d21rocsparse_index_base_imNS_24const_host_device_scalarIfEENS9_IdEENS9_IS5_EEb
                                        ; -- End function
	.set _ZN9rocsparseL12csrilu0_hashILj256ELj32ELj16E21rocsparse_complex_numIdEEEviPKiS4_PT2_S4_PiS4_S7_S7_d21rocsparse_index_base_imNS_24const_host_device_scalarIfEENS9_IdEENS9_IS5_EEb.num_vgpr, 38
	.set _ZN9rocsparseL12csrilu0_hashILj256ELj32ELj16E21rocsparse_complex_numIdEEEviPKiS4_PT2_S4_PiS4_S7_S7_d21rocsparse_index_base_imNS_24const_host_device_scalarIfEENS9_IdEENS9_IS5_EEb.num_agpr, 0
	.set _ZN9rocsparseL12csrilu0_hashILj256ELj32ELj16E21rocsparse_complex_numIdEEEviPKiS4_PT2_S4_PiS4_S7_S7_d21rocsparse_index_base_imNS_24const_host_device_scalarIfEENS9_IdEENS9_IS5_EEb.numbered_sgpr, 62
	.set _ZN9rocsparseL12csrilu0_hashILj256ELj32ELj16E21rocsparse_complex_numIdEEEviPKiS4_PT2_S4_PiS4_S7_S7_d21rocsparse_index_base_imNS_24const_host_device_scalarIfEENS9_IdEENS9_IS5_EEb.num_named_barrier, 0
	.set _ZN9rocsparseL12csrilu0_hashILj256ELj32ELj16E21rocsparse_complex_numIdEEEviPKiS4_PT2_S4_PiS4_S7_S7_d21rocsparse_index_base_imNS_24const_host_device_scalarIfEENS9_IdEENS9_IS5_EEb.private_seg_size, 16
	.set _ZN9rocsparseL12csrilu0_hashILj256ELj32ELj16E21rocsparse_complex_numIdEEEviPKiS4_PT2_S4_PiS4_S7_S7_d21rocsparse_index_base_imNS_24const_host_device_scalarIfEENS9_IdEENS9_IS5_EEb.uses_vcc, 1
	.set _ZN9rocsparseL12csrilu0_hashILj256ELj32ELj16E21rocsparse_complex_numIdEEEviPKiS4_PT2_S4_PiS4_S7_S7_d21rocsparse_index_base_imNS_24const_host_device_scalarIfEENS9_IdEENS9_IS5_EEb.uses_flat_scratch, 0
	.set _ZN9rocsparseL12csrilu0_hashILj256ELj32ELj16E21rocsparse_complex_numIdEEEviPKiS4_PT2_S4_PiS4_S7_S7_d21rocsparse_index_base_imNS_24const_host_device_scalarIfEENS9_IdEENS9_IS5_EEb.has_dyn_sized_stack, 0
	.set _ZN9rocsparseL12csrilu0_hashILj256ELj32ELj16E21rocsparse_complex_numIdEEEviPKiS4_PT2_S4_PiS4_S7_S7_d21rocsparse_index_base_imNS_24const_host_device_scalarIfEENS9_IdEENS9_IS5_EEb.has_recursion, 0
	.set _ZN9rocsparseL12csrilu0_hashILj256ELj32ELj16E21rocsparse_complex_numIdEEEviPKiS4_PT2_S4_PiS4_S7_S7_d21rocsparse_index_base_imNS_24const_host_device_scalarIfEENS9_IdEENS9_IS5_EEb.has_indirect_call, 0
	.section	.AMDGPU.csdata,"",@progbits
; Kernel info:
; codeLenInByte = 3200
; TotalNumSgprs: 68
; NumVgprs: 38
; NumAgprs: 0
; TotalNumVgprs: 38
; ScratchSize: 16
; MemoryBound: 0
; FloatMode: 240
; IeeeMode: 1
; LDSByteSize: 32768 bytes/workgroup (compile time only)
; SGPRBlocks: 12
; VGPRBlocks: 10
; NumSGPRsForWavesPerEU: 102
; NumVGPRsForWavesPerEU: 81
; AccumOffset: 40
; Occupancy: 5
; WaveLimiterHint : 1
; COMPUTE_PGM_RSRC2:SCRATCH_EN: 1
; COMPUTE_PGM_RSRC2:USER_SGPR: 2
; COMPUTE_PGM_RSRC2:TRAP_HANDLER: 0
; COMPUTE_PGM_RSRC2:TGID_X_EN: 1
; COMPUTE_PGM_RSRC2:TGID_Y_EN: 0
; COMPUTE_PGM_RSRC2:TGID_Z_EN: 0
; COMPUTE_PGM_RSRC2:TIDIG_COMP_CNT: 0
; COMPUTE_PGM_RSRC3_GFX90A:ACCUM_OFFSET: 9
; COMPUTE_PGM_RSRC3_GFX90A:TG_SPLIT: 0
	.section	.text._ZN9rocsparseL17csrilu0_binsearchILj256ELj32ELb0E21rocsparse_complex_numIdEEEviPKiS4_PT2_S4_PiS4_S7_S7_d21rocsparse_index_base_imNS_24const_host_device_scalarIfEENS9_IdEENS9_IS5_EEb,"axG",@progbits,_ZN9rocsparseL17csrilu0_binsearchILj256ELj32ELb0E21rocsparse_complex_numIdEEEviPKiS4_PT2_S4_PiS4_S7_S7_d21rocsparse_index_base_imNS_24const_host_device_scalarIfEENS9_IdEENS9_IS5_EEb,comdat
	.globl	_ZN9rocsparseL17csrilu0_binsearchILj256ELj32ELb0E21rocsparse_complex_numIdEEEviPKiS4_PT2_S4_PiS4_S7_S7_d21rocsparse_index_base_imNS_24const_host_device_scalarIfEENS9_IdEENS9_IS5_EEb ; -- Begin function _ZN9rocsparseL17csrilu0_binsearchILj256ELj32ELb0E21rocsparse_complex_numIdEEEviPKiS4_PT2_S4_PiS4_S7_S7_d21rocsparse_index_base_imNS_24const_host_device_scalarIfEENS9_IdEENS9_IS5_EEb
	.p2align	8
	.type	_ZN9rocsparseL17csrilu0_binsearchILj256ELj32ELb0E21rocsparse_complex_numIdEEEviPKiS4_PT2_S4_PiS4_S7_S7_d21rocsparse_index_base_imNS_24const_host_device_scalarIfEENS9_IdEENS9_IS5_EEb,@function
_ZN9rocsparseL17csrilu0_binsearchILj256ELj32ELb0E21rocsparse_complex_numIdEEEviPKiS4_PT2_S4_PiS4_S7_S7_d21rocsparse_index_base_imNS_24const_host_device_scalarIfEENS9_IdEENS9_IS5_EEb: ; @_ZN9rocsparseL17csrilu0_binsearchILj256ELj32ELb0E21rocsparse_complex_numIdEEEviPKiS4_PT2_S4_PiS4_S7_S7_d21rocsparse_index_base_imNS_24const_host_device_scalarIfEENS9_IdEENS9_IS5_EEb
; %bb.0:
	s_load_dword s3, s[0:1], 0x80
	s_load_dwordx8 s[24:31], s[0:1], 0x58
	s_load_dwordx2 s[4:5], s[0:1], 0x78
	s_load_dwordx2 s[34:35], s[0:1], 0x50
	s_waitcnt lgkmcnt(0)
	s_bitcmp1_b32 s3, 0
	s_cselect_b64 s[8:9], -1, 0
	v_mov_b64_e32 v[2:3], s[30:31]
	s_cmp_eq_u32 s35, 0
	s_cselect_b64 s[14:15], -1, 0
	s_cmp_lg_u32 s35, 0
	s_cselect_b64 s[10:11], -1, 0
	s_or_b64 s[16:17], s[14:15], s[8:9]
	s_xor_b64 s[6:7], s[16:17], -1
	s_and_b64 s[12:13], s[14:15], exec
	s_cselect_b32 s13, 0, s29
	s_cselect_b32 s12, 0, s28
	s_and_b64 vcc, exec, s[16:17]
	scratch_store_dwordx2 off, v[2:3], off
	s_cbranch_vccnz .LBB45_2
; %bb.1:
	s_load_dword s3, s[26:27], 0x0
	s_mov_b64 s[12:13], s[28:29]
	s_waitcnt lgkmcnt(0)
	v_mov_b32_e32 v23, s3
	s_andn2_b64 vcc, exec, s[6:7]
	v_mov_b64_e32 v[12:13], s[12:13]
	s_cbranch_vccz .LBB45_3
	s_branch .LBB45_4
.LBB45_2:
	v_mov_b32_e32 v1, s26
	v_cndmask_b32_e64 v23, v1, 0, s[14:15]
	s_andn2_b64 vcc, exec, s[6:7]
	v_mov_b64_e32 v[12:13], s[12:13]
	s_cbranch_vccnz .LBB45_4
.LBB45_3:
	v_mov_b64_e32 v[2:3], s[28:29]
	flat_load_dwordx2 v[12:13], v[2:3]
.LBB45_4:
	v_cndmask_b32_e64 v1, 0, 1, s[10:11]
	v_mov_b64_e32 v[26:27], 0
	v_cmp_ne_u32_e64 s[6:7], 1, v1
	s_andn2_b64 vcc, exec, s[10:11]
	v_mov_b64_e32 v[28:29], 0
	s_cbranch_vccnz .LBB45_7
; %bb.5:
	s_xor_b64 s[12:13], s[8:9], -1
	s_mov_b64 s[10:11], src_private_base
	s_and_b64 s[8:9], s[8:9], exec
	s_cselect_b32 s3, s11, s31
	s_cselect_b32 s8, 0, s30
	v_mov_b32_e32 v2, s8
	v_mov_b32_e32 v3, s3
	flat_load_dwordx2 v[26:27], v[2:3]
	s_andn2_b64 vcc, exec, s[12:13]
	v_mov_b64_e32 v[28:29], s[4:5]
	s_cbranch_vccnz .LBB45_7
; %bb.6:
	v_mov_b64_e32 v[2:3], s[30:31]
	flat_load_dwordx2 v[28:29], v[2:3] offset:8
.LBB45_7:
	s_load_dword s3, s[0:1], 0x0
	s_lshl_b32 s2, s2, 3
	v_lshrrev_b32_e32 v1, 5, v0
	s_and_b32 s2, s2, 0x7fffff8
	v_or_b32_e32 v1, s2, v1
	s_waitcnt lgkmcnt(0)
	v_cmp_gt_i32_e32 vcc, s3, v1
	s_and_saveexec_b64 s[2:3], vcc
	s_cbranch_execz .LBB45_49
; %bb.8:
	s_load_dwordx16 s[8:23], s[0:1], 0x8
	v_lshlrev_b32_e32 v1, 2, v1
	v_and_b32_e32 v22, 31, v0
	s_waitcnt lgkmcnt(0)
	global_load_dword v10, v1, s[18:19]
	s_waitcnt vmcnt(0)
	v_ashrrev_i32_e32 v11, 31, v10
	v_lshlrev_b64 v[2:3], 2, v[10:11]
	v_lshl_add_u64 v[4:5], s[14:15], 0, v[2:3]
	v_lshl_add_u64 v[2:3], s[8:9], 0, v[2:3]
	global_load_dword v1, v[2:3], off
	global_load_dword v14, v[4:5], off
	s_waitcnt vmcnt(1)
	v_subrev_u32_e32 v16, s34, v1
	s_waitcnt vmcnt(0)
	v_cmp_lt_i32_e32 vcc, v16, v14
	s_and_saveexec_b64 s[4:5], vcc
	s_cbranch_execz .LBB45_25
; %bb.9:
	global_load_dword v0, v[2:3], off offset:4
	v_add_u32_e32 v15, 1, v22
	s_mov_b64 s[18:19], 0
	s_waitcnt vmcnt(0)
	v_xad_u32 v24, s34, -1, v0
	s_branch .LBB45_12
.LBB45_10:                              ;   in Loop: Header=BB45_12 Depth=1
	s_or_b64 exec, exec, s[26:27]
	v_cmp_ge_i32_e32 vcc, v16, v14
	s_orn2_b64 s[26:27], vcc, exec
.LBB45_11:                              ;   in Loop: Header=BB45_12 Depth=1
	s_or_b64 exec, exec, s[2:3]
	s_and_b64 s[2:3], exec, s[26:27]
	s_or_b64 s[18:19], s[2:3], s[18:19]
	s_andn2_b64 exec, exec, s[18:19]
	s_cbranch_execz .LBB45_25
.LBB45_12:                              ; =>This Loop Header: Depth=1
                                        ;     Child Loop BB45_14 Depth 2
                                        ;     Child Loop BB45_19 Depth 2
                                        ;       Child Loop BB45_21 Depth 3
	v_ashrrev_i32_e32 v17, 31, v16
	v_lshl_add_u64 v[0:1], v[16:17], 2, s[10:11]
	global_load_dword v0, v[0:1], off
	v_lshl_add_u64 v[18:19], v[16:17], 4, s[12:13]
	global_load_dwordx4 v[2:5], v[18:19], off
	s_waitcnt vmcnt(1)
	v_subrev_u32_e32 v0, s34, v0
	v_ashrrev_i32_e32 v1, 31, v0
	v_lshlrev_b64 v[0:1], 2, v[0:1]
	v_lshl_add_u64 v[8:9], s[8:9], 0, v[0:1]
	v_lshl_add_u64 v[20:21], s[14:15], 0, v[0:1]
	;; [unrolled: 1-line block ×3, first 2 shown]
	global_load_dword v7, v[8:9], off offset:4
	global_load_dword v6, v[20:21], off
	global_load_dword v17, v[0:1], off sc1
	s_waitcnt vmcnt(0)
	v_cmp_eq_u32_e32 vcc, 0, v17
	s_and_saveexec_b64 s[2:3], vcc
	s_cbranch_execz .LBB45_15
; %bb.13:                               ;   in Loop: Header=BB45_12 Depth=1
	s_mov_b64 s[26:27], 0
.LBB45_14:                              ;   Parent Loop BB45_12 Depth=1
                                        ; =>  This Inner Loop Header: Depth=2
	global_load_dword v8, v[0:1], off sc1
	s_waitcnt vmcnt(0)
	v_cmp_ne_u32_e32 vcc, 0, v8
	s_or_b64 s[26:27], vcc, s[26:27]
	s_andn2_b64 exec, exec, s[26:27]
	s_cbranch_execnz .LBB45_14
.LBB45_15:                              ;   in Loop: Header=BB45_12 Depth=1
	s_or_b64 exec, exec, s[2:3]
	v_subrev_u32_e32 v17, s34, v7
	v_add_u32_e32 v0, -1, v17
	v_cmp_eq_u32_e32 vcc, -1, v6
	buffer_inv sc1
	s_mov_b64 s[26:27], -1
	v_cndmask_b32_e32 v20, v6, v0, vcc
	v_ashrrev_i32_e32 v21, 31, v20
	v_lshl_add_u64 v[0:1], v[20:21], 4, s[12:13]
	global_load_dwordx4 v[6:9], v[0:1], off
	s_waitcnt vmcnt(0)
	v_cmp_neq_f64_e32 vcc, 0, v[6:7]
	v_cmp_neq_f64_e64 s[2:3], 0, v[8:9]
	s_or_b64 s[2:3], vcc, s[2:3]
	s_and_saveexec_b64 s[28:29], s[2:3]
	s_xor_b64 s[2:3], exec, s[28:29]
	s_cbranch_execz .LBB45_11
; %bb.16:                               ;   in Loop: Header=BB45_12 Depth=1
	v_mul_f64 v[0:1], v[8:9], v[8:9]
	v_fmac_f64_e32 v[0:1], v[6:7], v[6:7]
	v_div_scale_f64 v[30:31], s[26:27], v[0:1], v[0:1], 1.0
	v_rcp_f64_e32 v[32:33], v[30:31]
	v_div_scale_f64 v[34:35], vcc, 1.0, v[0:1], 1.0
	v_add_u32_e32 v16, 1, v16
	v_fma_f64 v[36:37], -v[30:31], v[32:33], 1.0
	v_fmac_f64_e32 v[32:33], v[32:33], v[36:37]
	v_fma_f64 v[36:37], -v[30:31], v[32:33], 1.0
	v_fmac_f64_e32 v[32:33], v[32:33], v[36:37]
	v_mul_f64 v[36:37], v[34:35], v[32:33]
	v_fma_f64 v[30:31], -v[30:31], v[36:37], v[34:35]
	v_div_fmas_f64 v[30:31], v[30:31], v[32:33], v[36:37]
	v_div_fixup_f64 v[30:31], v[30:31], v[0:1], 1.0
	v_mul_f64 v[0:1], v[4:5], v[8:9]
	v_fmac_f64_e32 v[0:1], v[2:3], v[6:7]
	v_mul_f64 v[2:3], v[8:9], -v[2:3]
	v_fmac_f64_e32 v[2:3], v[4:5], v[6:7]
	v_add_u32_e32 v4, v15, v20
	v_mul_f64 v[0:1], v[0:1], v[30:31]
	v_mul_f64 v[2:3], v[2:3], v[30:31]
	v_cmp_lt_i32_e32 vcc, v4, v17
	global_store_dwordx4 v[18:19], v[0:3], off
	s_and_saveexec_b64 s[26:27], vcc
	s_cbranch_execz .LBB45_10
; %bb.17:                               ;   in Loop: Header=BB45_12 Depth=1
	s_mov_b64 s[28:29], 0
	v_mov_b32_e32 v6, v16
	s_branch .LBB45_19
.LBB45_18:                              ;   in Loop: Header=BB45_19 Depth=2
	s_or_b64 exec, exec, s[30:31]
	v_add_u32_e32 v4, 32, v4
	v_cmp_ge_i32_e32 vcc, v4, v17
	s_or_b64 s[28:29], vcc, s[28:29]
	s_andn2_b64 exec, exec, s[28:29]
	s_cbranch_execz .LBB45_10
.LBB45_19:                              ;   Parent Loop BB45_12 Depth=1
                                        ; =>  This Loop Header: Depth=2
                                        ;       Child Loop BB45_21 Depth 3
	v_add_u32_e32 v7, v6, v24
	v_ashrrev_i32_e32 v5, 31, v4
	v_ashrrev_i32_e32 v8, 1, v7
	v_lshl_add_u64 v[18:19], v[4:5], 2, s[10:11]
	v_ashrrev_i32_e32 v9, 31, v8
	v_lshl_add_u64 v[20:21], v[8:9], 2, s[10:11]
	global_load_dword v7, v[18:19], off
	global_load_dword v9, v[20:21], off
	v_cmp_lt_i32_e32 vcc, v6, v24
	s_and_saveexec_b64 s[30:31], vcc
	s_cbranch_execz .LBB45_23
; %bb.20:                               ;   in Loop: Header=BB45_19 Depth=2
	s_mov_b64 s[36:37], 0
	v_mov_b32_e32 v18, v24
.LBB45_21:                              ;   Parent Loop BB45_12 Depth=1
                                        ;     Parent Loop BB45_19 Depth=2
                                        ; =>    This Inner Loop Header: Depth=3
	v_add_u32_e32 v19, 1, v8
	s_waitcnt vmcnt(0)
	v_cmp_lt_i32_e32 vcc, v9, v7
	s_nop 1
	v_cndmask_b32_e32 v18, v8, v18, vcc
	v_cndmask_b32_e32 v6, v6, v19, vcc
	v_add_u32_e32 v8, v18, v6
	v_ashrrev_i32_e32 v8, 1, v8
	v_ashrrev_i32_e32 v9, 31, v8
	v_lshl_add_u64 v[20:21], v[8:9], 2, s[10:11]
	global_load_dword v9, v[20:21], off
	v_cmp_ge_i32_e32 vcc, v6, v18
	s_or_b64 s[36:37], vcc, s[36:37]
	s_andn2_b64 exec, exec, s[36:37]
	s_cbranch_execnz .LBB45_21
; %bb.22:                               ;   in Loop: Header=BB45_19 Depth=2
	s_or_b64 exec, exec, s[36:37]
.LBB45_23:                              ;   in Loop: Header=BB45_19 Depth=2
	s_or_b64 exec, exec, s[30:31]
	s_waitcnt vmcnt(0)
	v_cmp_eq_u32_e32 vcc, v9, v7
	s_and_saveexec_b64 s[30:31], vcc
	s_cbranch_execz .LBB45_18
; %bb.24:                               ;   in Loop: Header=BB45_19 Depth=2
	v_lshl_add_u64 v[8:9], v[4:5], 4, s[12:13]
	v_ashrrev_i32_e32 v7, 31, v6
	v_lshl_add_u64 v[34:35], v[6:7], 4, s[12:13]
	global_load_dwordx4 v[18:21], v[8:9], off
	global_load_dwordx4 v[30:33], v[34:35], off
	s_waitcnt vmcnt(0)
	v_fma_f64 v[30:31], -v[0:1], v[18:19], v[30:31]
	v_fma_f64 v[8:9], -v[2:3], v[18:19], v[32:33]
	v_fmac_f64_e32 v[30:31], v[2:3], v[20:21]
	v_fma_f64 v[32:33], -v[0:1], v[20:21], v[8:9]
	global_store_dwordx4 v[34:35], v[30:33], off
	s_branch .LBB45_18
.LBB45_25:
	s_or_b64 exec, exec, s[4:5]
	v_cmp_lt_i32_e32 vcc, -1, v14
	s_and_saveexec_b64 s[2:3], vcc
	s_cbranch_execz .LBB45_47
; %bb.26:
	v_mov_b32_e32 v15, 0
	v_lshl_add_u64 v[4:5], v[14:15], 4, s[12:13]
	global_load_dwordx4 v[0:3], v[4:5], off
                                        ; implicit-def: $vgpr14_vgpr15
	s_waitcnt vmcnt(0)
	v_xor_b32_e32 v7, 0x80000000, v1
	v_cmp_gt_f64_e32 vcc, 0, v[0:1]
	v_xor_b32_e32 v8, 0x80000000, v3
	v_mov_b32_e32 v6, v0
	v_cndmask_b32_e32 v7, v1, v7, vcc
	v_cmp_gt_f64_e32 vcc, 0, v[2:3]
	s_nop 1
	v_cndmask_b32_e32 v9, v3, v8, vcc
	v_mov_b32_e32 v8, v2
	v_cmp_ngt_f64_e32 vcc, v[6:7], v[8:9]
	s_and_saveexec_b64 s[4:5], vcc
	s_xor_b64 s[4:5], exec, s[4:5]
	s_cbranch_execz .LBB45_30
; %bb.27:
	v_mov_b64_e32 v[14:15], 0
	v_cmp_neq_f64_e32 vcc, 0, v[2:3]
	s_and_saveexec_b64 s[8:9], vcc
	s_cbranch_execz .LBB45_29
; %bb.28:
	v_div_scale_f64 v[14:15], s[10:11], v[8:9], v[8:9], v[6:7]
	v_rcp_f64_e32 v[16:17], v[14:15]
	v_div_scale_f64 v[18:19], vcc, v[6:7], v[8:9], v[6:7]
	s_mov_b32 s10, 0
	v_fma_f64 v[20:21], -v[14:15], v[16:17], 1.0
	v_fmac_f64_e32 v[16:17], v[16:17], v[20:21]
	v_fma_f64 v[20:21], -v[14:15], v[16:17], 1.0
	v_fmac_f64_e32 v[16:17], v[16:17], v[20:21]
	v_mul_f64 v[20:21], v[18:19], v[16:17]
	v_fma_f64 v[14:15], -v[14:15], v[20:21], v[18:19]
	v_div_fmas_f64 v[14:15], v[14:15], v[16:17], v[20:21]
	v_div_fixup_f64 v[6:7], v[14:15], v[8:9], v[6:7]
	v_fma_f64 v[6:7], v[6:7], v[6:7], 1.0
	s_brev_b32 s11, 8
	v_mov_b32_e32 v14, 0x100
	v_cmp_gt_f64_e32 vcc, s[10:11], v[6:7]
	s_nop 1
	v_cndmask_b32_e32 v14, 0, v14, vcc
	v_ldexp_f64 v[6:7], v[6:7], v14
	v_rsq_f64_e32 v[14:15], v[6:7]
	s_nop 0
	v_mul_f64 v[16:17], v[6:7], v[14:15]
	v_mul_f64 v[14:15], v[14:15], 0.5
	v_fma_f64 v[18:19], -v[14:15], v[16:17], 0.5
	v_fmac_f64_e32 v[16:17], v[16:17], v[18:19]
	v_fma_f64 v[20:21], -v[16:17], v[16:17], v[6:7]
	v_fmac_f64_e32 v[14:15], v[14:15], v[18:19]
	v_fmac_f64_e32 v[16:17], v[20:21], v[14:15]
	v_fma_f64 v[18:19], -v[16:17], v[16:17], v[6:7]
	v_fmac_f64_e32 v[16:17], v[18:19], v[14:15]
	v_mov_b32_e32 v14, 0xffffff80
	v_cndmask_b32_e32 v14, 0, v14, vcc
	v_ldexp_f64 v[14:15], v[16:17], v14
	v_mov_b32_e32 v16, 0x260
	v_cmp_class_f64_e32 vcc, v[6:7], v16
	s_nop 1
	v_cndmask_b32_e32 v7, v15, v7, vcc
	v_cndmask_b32_e32 v6, v14, v6, vcc
	v_mul_f64 v[14:15], v[8:9], v[6:7]
.LBB45_29:
	s_or_b64 exec, exec, s[8:9]
                                        ; implicit-def: $vgpr6_vgpr7
                                        ; implicit-def: $vgpr8_vgpr9
.LBB45_30:
	s_andn2_saveexec_b64 s[4:5], s[4:5]
	s_cbranch_execz .LBB45_32
; %bb.31:
	v_div_scale_f64 v[14:15], s[8:9], v[6:7], v[6:7], v[8:9]
	v_rcp_f64_e32 v[16:17], v[14:15]
	v_div_scale_f64 v[18:19], vcc, v[8:9], v[6:7], v[8:9]
	s_mov_b32 s8, 0
	v_fma_f64 v[20:21], -v[14:15], v[16:17], 1.0
	v_fmac_f64_e32 v[16:17], v[16:17], v[20:21]
	v_fma_f64 v[20:21], -v[14:15], v[16:17], 1.0
	v_fmac_f64_e32 v[16:17], v[16:17], v[20:21]
	v_mul_f64 v[20:21], v[18:19], v[16:17]
	v_fma_f64 v[14:15], -v[14:15], v[20:21], v[18:19]
	v_div_fmas_f64 v[14:15], v[14:15], v[16:17], v[20:21]
	v_div_fixup_f64 v[8:9], v[14:15], v[6:7], v[8:9]
	v_fma_f64 v[8:9], v[8:9], v[8:9], 1.0
	s_brev_b32 s9, 8
	v_mov_b32_e32 v14, 0x100
	v_cmp_gt_f64_e32 vcc, s[8:9], v[8:9]
	s_nop 1
	v_cndmask_b32_e32 v14, 0, v14, vcc
	v_ldexp_f64 v[8:9], v[8:9], v14
	v_rsq_f64_e32 v[14:15], v[8:9]
	s_nop 0
	v_mul_f64 v[16:17], v[8:9], v[14:15]
	v_mul_f64 v[14:15], v[14:15], 0.5
	v_fma_f64 v[18:19], -v[14:15], v[16:17], 0.5
	v_fmac_f64_e32 v[16:17], v[16:17], v[18:19]
	v_fma_f64 v[20:21], -v[16:17], v[16:17], v[8:9]
	v_fmac_f64_e32 v[14:15], v[14:15], v[18:19]
	v_fmac_f64_e32 v[16:17], v[20:21], v[14:15]
	v_fma_f64 v[18:19], -v[16:17], v[16:17], v[8:9]
	v_fmac_f64_e32 v[16:17], v[18:19], v[14:15]
	v_mov_b32_e32 v14, 0xffffff80
	v_cndmask_b32_e32 v14, 0, v14, vcc
	v_ldexp_f64 v[14:15], v[16:17], v14
	v_mov_b32_e32 v16, 0x260
	v_cmp_class_f64_e32 vcc, v[8:9], v16
	s_nop 1
	v_cndmask_b32_e32 v9, v15, v9, vcc
	v_cndmask_b32_e32 v8, v14, v8, vcc
	v_mul_f64 v[14:15], v[6:7], v[8:9]
.LBB45_32:
	s_or_b64 exec, exec, s[4:5]
	v_cmp_eq_u32_e64 s[4:5], 0, v22
	s_and_b64 vcc, exec, s[6:7]
	s_mov_b64 s[6:7], -1
	s_cbranch_vccnz .LBB45_36
; %bb.33:
	s_cmp_eq_u64 s[24:25], 8
	v_cvt_f64_f32_e32 v[6:7], v23
	s_cselect_b64 vcc, -1, 0
	v_cndmask_b32_e32 v7, v7, v13, vcc
	v_cndmask_b32_e32 v6, v6, v12, vcc
	v_cmp_le_f64_e32 vcc, v[14:15], v[6:7]
	s_and_b64 s[8:9], s[4:5], vcc
	s_and_saveexec_b64 s[6:7], s[8:9]
	s_cbranch_execz .LBB45_35
; %bb.34:
	global_store_dwordx4 v[4:5], v[26:29], off
.LBB45_35:
	s_or_b64 exec, exec, s[6:7]
	s_mov_b64 s[6:7], 0
.LBB45_36:
	s_andn2_b64 vcc, exec, s[6:7]
	s_cbranch_vccnz .LBB45_47
; %bb.37:
	s_load_dwordx2 s[0:1], s[0:1], 0x48
	v_add_u32_e32 v4, s34, v10
	s_waitcnt lgkmcnt(0)
	v_cmp_ge_f64_e32 vcc, s[0:1], v[14:15]
	s_and_b64 s[6:7], s[4:5], vcc
	s_and_saveexec_b64 s[0:1], s[6:7]
	s_cbranch_execz .LBB45_42
; %bb.38:
	s_mov_b64 s[6:7], exec
	s_brev_b32 s8, -2
.LBB45_39:                              ; =>This Inner Loop Header: Depth=1
	s_ff1_i32_b64 s9, s[6:7]
	v_readlane_b32 s12, v4, s9
	s_lshl_b64 s[10:11], 1, s9
	s_min_i32 s8, s8, s12
	s_andn2_b64 s[6:7], s[6:7], s[10:11]
	s_cmp_lg_u64 s[6:7], 0
	s_cbranch_scc1 .LBB45_39
; %bb.40:
	v_mbcnt_lo_u32_b32 v5, exec_lo, 0
	v_mbcnt_hi_u32_b32 v5, exec_hi, v5
	v_cmp_eq_u32_e32 vcc, 0, v5
	s_and_saveexec_b64 s[6:7], vcc
	s_xor_b64 s[6:7], exec, s[6:7]
	s_cbranch_execz .LBB45_42
; %bb.41:
	v_mov_b32_e32 v5, 0
	v_mov_b32_e32 v6, s8
	global_atomic_smin v5, v6, s[22:23]
.LBB45_42:
	s_or_b64 exec, exec, s[0:1]
	v_cmp_eq_f64_e32 vcc, 0, v[0:1]
	v_cmp_eq_f64_e64 s[0:1], 0, v[2:3]
	s_and_b64 s[0:1], vcc, s[0:1]
	s_and_b64 s[0:1], s[4:5], s[0:1]
	s_and_b64 exec, exec, s[0:1]
	s_cbranch_execz .LBB45_47
; %bb.43:
	s_mov_b64 s[0:1], exec
	s_brev_b32 s4, -2
.LBB45_44:                              ; =>This Inner Loop Header: Depth=1
	s_ff1_i32_b64 s5, s[0:1]
	v_readlane_b32 s8, v4, s5
	s_lshl_b64 s[6:7], 1, s5
	s_min_i32 s4, s4, s8
	s_andn2_b64 s[0:1], s[0:1], s[6:7]
	s_cmp_lg_u64 s[0:1], 0
	s_cbranch_scc1 .LBB45_44
; %bb.45:
	v_mbcnt_lo_u32_b32 v0, exec_lo, 0
	v_mbcnt_hi_u32_b32 v0, exec_hi, v0
	v_cmp_eq_u32_e32 vcc, 0, v0
	s_and_saveexec_b64 s[0:1], vcc
	s_xor_b64 s[0:1], exec, s[0:1]
	s_cbranch_execz .LBB45_47
; %bb.46:
	v_mov_b32_e32 v0, 0
	v_mov_b32_e32 v1, s4
	global_atomic_smin v0, v1, s[20:21]
.LBB45_47:
	s_or_b64 exec, exec, s[2:3]
	v_cmp_eq_u32_e32 vcc, 0, v22
	buffer_wbl2 sc1
	s_waitcnt vmcnt(0)
	buffer_inv sc1
	s_and_b64 exec, exec, vcc
	s_cbranch_execz .LBB45_49
; %bb.48:
	v_lshl_add_u64 v[0:1], v[10:11], 2, s[16:17]
	v_mov_b32_e32 v2, 1
	buffer_wbl2 sc1
	global_store_dword v[0:1], v2, off sc1
.LBB45_49:
	s_endpgm
	.section	.rodata,"a",@progbits
	.p2align	6, 0x0
	.amdhsa_kernel _ZN9rocsparseL17csrilu0_binsearchILj256ELj32ELb0E21rocsparse_complex_numIdEEEviPKiS4_PT2_S4_PiS4_S7_S7_d21rocsparse_index_base_imNS_24const_host_device_scalarIfEENS9_IdEENS9_IS5_EEb
		.amdhsa_group_segment_fixed_size 0
		.amdhsa_private_segment_fixed_size 16
		.amdhsa_kernarg_size 132
		.amdhsa_user_sgpr_count 2
		.amdhsa_user_sgpr_dispatch_ptr 0
		.amdhsa_user_sgpr_queue_ptr 0
		.amdhsa_user_sgpr_kernarg_segment_ptr 1
		.amdhsa_user_sgpr_dispatch_id 0
		.amdhsa_user_sgpr_kernarg_preload_length 0
		.amdhsa_user_sgpr_kernarg_preload_offset 0
		.amdhsa_user_sgpr_private_segment_size 0
		.amdhsa_uses_dynamic_stack 0
		.amdhsa_enable_private_segment 1
		.amdhsa_system_sgpr_workgroup_id_x 1
		.amdhsa_system_sgpr_workgroup_id_y 0
		.amdhsa_system_sgpr_workgroup_id_z 0
		.amdhsa_system_sgpr_workgroup_info 0
		.amdhsa_system_vgpr_workitem_id 0
		.amdhsa_next_free_vgpr 38
		.amdhsa_next_free_sgpr 38
		.amdhsa_accum_offset 40
		.amdhsa_reserve_vcc 1
		.amdhsa_float_round_mode_32 0
		.amdhsa_float_round_mode_16_64 0
		.amdhsa_float_denorm_mode_32 3
		.amdhsa_float_denorm_mode_16_64 3
		.amdhsa_dx10_clamp 1
		.amdhsa_ieee_mode 1
		.amdhsa_fp16_overflow 0
		.amdhsa_tg_split 0
		.amdhsa_exception_fp_ieee_invalid_op 0
		.amdhsa_exception_fp_denorm_src 0
		.amdhsa_exception_fp_ieee_div_zero 0
		.amdhsa_exception_fp_ieee_overflow 0
		.amdhsa_exception_fp_ieee_underflow 0
		.amdhsa_exception_fp_ieee_inexact 0
		.amdhsa_exception_int_div_zero 0
	.end_amdhsa_kernel
	.section	.text._ZN9rocsparseL17csrilu0_binsearchILj256ELj32ELb0E21rocsparse_complex_numIdEEEviPKiS4_PT2_S4_PiS4_S7_S7_d21rocsparse_index_base_imNS_24const_host_device_scalarIfEENS9_IdEENS9_IS5_EEb,"axG",@progbits,_ZN9rocsparseL17csrilu0_binsearchILj256ELj32ELb0E21rocsparse_complex_numIdEEEviPKiS4_PT2_S4_PiS4_S7_S7_d21rocsparse_index_base_imNS_24const_host_device_scalarIfEENS9_IdEENS9_IS5_EEb,comdat
.Lfunc_end45:
	.size	_ZN9rocsparseL17csrilu0_binsearchILj256ELj32ELb0E21rocsparse_complex_numIdEEEviPKiS4_PT2_S4_PiS4_S7_S7_d21rocsparse_index_base_imNS_24const_host_device_scalarIfEENS9_IdEENS9_IS5_EEb, .Lfunc_end45-_ZN9rocsparseL17csrilu0_binsearchILj256ELj32ELb0E21rocsparse_complex_numIdEEEviPKiS4_PT2_S4_PiS4_S7_S7_d21rocsparse_index_base_imNS_24const_host_device_scalarIfEENS9_IdEENS9_IS5_EEb
                                        ; -- End function
	.set _ZN9rocsparseL17csrilu0_binsearchILj256ELj32ELb0E21rocsparse_complex_numIdEEEviPKiS4_PT2_S4_PiS4_S7_S7_d21rocsparse_index_base_imNS_24const_host_device_scalarIfEENS9_IdEENS9_IS5_EEb.num_vgpr, 38
	.set _ZN9rocsparseL17csrilu0_binsearchILj256ELj32ELb0E21rocsparse_complex_numIdEEEviPKiS4_PT2_S4_PiS4_S7_S7_d21rocsparse_index_base_imNS_24const_host_device_scalarIfEENS9_IdEENS9_IS5_EEb.num_agpr, 0
	.set _ZN9rocsparseL17csrilu0_binsearchILj256ELj32ELb0E21rocsparse_complex_numIdEEEviPKiS4_PT2_S4_PiS4_S7_S7_d21rocsparse_index_base_imNS_24const_host_device_scalarIfEENS9_IdEENS9_IS5_EEb.numbered_sgpr, 38
	.set _ZN9rocsparseL17csrilu0_binsearchILj256ELj32ELb0E21rocsparse_complex_numIdEEEviPKiS4_PT2_S4_PiS4_S7_S7_d21rocsparse_index_base_imNS_24const_host_device_scalarIfEENS9_IdEENS9_IS5_EEb.num_named_barrier, 0
	.set _ZN9rocsparseL17csrilu0_binsearchILj256ELj32ELb0E21rocsparse_complex_numIdEEEviPKiS4_PT2_S4_PiS4_S7_S7_d21rocsparse_index_base_imNS_24const_host_device_scalarIfEENS9_IdEENS9_IS5_EEb.private_seg_size, 16
	.set _ZN9rocsparseL17csrilu0_binsearchILj256ELj32ELb0E21rocsparse_complex_numIdEEEviPKiS4_PT2_S4_PiS4_S7_S7_d21rocsparse_index_base_imNS_24const_host_device_scalarIfEENS9_IdEENS9_IS5_EEb.uses_vcc, 1
	.set _ZN9rocsparseL17csrilu0_binsearchILj256ELj32ELb0E21rocsparse_complex_numIdEEEviPKiS4_PT2_S4_PiS4_S7_S7_d21rocsparse_index_base_imNS_24const_host_device_scalarIfEENS9_IdEENS9_IS5_EEb.uses_flat_scratch, 0
	.set _ZN9rocsparseL17csrilu0_binsearchILj256ELj32ELb0E21rocsparse_complex_numIdEEEviPKiS4_PT2_S4_PiS4_S7_S7_d21rocsparse_index_base_imNS_24const_host_device_scalarIfEENS9_IdEENS9_IS5_EEb.has_dyn_sized_stack, 0
	.set _ZN9rocsparseL17csrilu0_binsearchILj256ELj32ELb0E21rocsparse_complex_numIdEEEviPKiS4_PT2_S4_PiS4_S7_S7_d21rocsparse_index_base_imNS_24const_host_device_scalarIfEENS9_IdEENS9_IS5_EEb.has_recursion, 0
	.set _ZN9rocsparseL17csrilu0_binsearchILj256ELj32ELb0E21rocsparse_complex_numIdEEEviPKiS4_PT2_S4_PiS4_S7_S7_d21rocsparse_index_base_imNS_24const_host_device_scalarIfEENS9_IdEENS9_IS5_EEb.has_indirect_call, 0
	.section	.AMDGPU.csdata,"",@progbits
; Kernel info:
; codeLenInByte = 2132
; TotalNumSgprs: 44
; NumVgprs: 38
; NumAgprs: 0
; TotalNumVgprs: 38
; ScratchSize: 16
; MemoryBound: 0
; FloatMode: 240
; IeeeMode: 1
; LDSByteSize: 0 bytes/workgroup (compile time only)
; SGPRBlocks: 5
; VGPRBlocks: 4
; NumSGPRsForWavesPerEU: 44
; NumVGPRsForWavesPerEU: 38
; AccumOffset: 40
; Occupancy: 8
; WaveLimiterHint : 1
; COMPUTE_PGM_RSRC2:SCRATCH_EN: 1
; COMPUTE_PGM_RSRC2:USER_SGPR: 2
; COMPUTE_PGM_RSRC2:TRAP_HANDLER: 0
; COMPUTE_PGM_RSRC2:TGID_X_EN: 1
; COMPUTE_PGM_RSRC2:TGID_Y_EN: 0
; COMPUTE_PGM_RSRC2:TGID_Z_EN: 0
; COMPUTE_PGM_RSRC2:TIDIG_COMP_CNT: 0
; COMPUTE_PGM_RSRC3_GFX90A:ACCUM_OFFSET: 9
; COMPUTE_PGM_RSRC3_GFX90A:TG_SPLIT: 0
	.section	.text._ZN9rocsparseL12csrilu0_hashILj256ELj64ELj1E21rocsparse_complex_numIdEEEviPKiS4_PT2_S4_PiS4_S7_S7_d21rocsparse_index_base_imNS_24const_host_device_scalarIfEENS9_IdEENS9_IS5_EEb,"axG",@progbits,_ZN9rocsparseL12csrilu0_hashILj256ELj64ELj1E21rocsparse_complex_numIdEEEviPKiS4_PT2_S4_PiS4_S7_S7_d21rocsparse_index_base_imNS_24const_host_device_scalarIfEENS9_IdEENS9_IS5_EEb,comdat
	.globl	_ZN9rocsparseL12csrilu0_hashILj256ELj64ELj1E21rocsparse_complex_numIdEEEviPKiS4_PT2_S4_PiS4_S7_S7_d21rocsparse_index_base_imNS_24const_host_device_scalarIfEENS9_IdEENS9_IS5_EEb ; -- Begin function _ZN9rocsparseL12csrilu0_hashILj256ELj64ELj1E21rocsparse_complex_numIdEEEviPKiS4_PT2_S4_PiS4_S7_S7_d21rocsparse_index_base_imNS_24const_host_device_scalarIfEENS9_IdEENS9_IS5_EEb
	.p2align	8
	.type	_ZN9rocsparseL12csrilu0_hashILj256ELj64ELj1E21rocsparse_complex_numIdEEEviPKiS4_PT2_S4_PiS4_S7_S7_d21rocsparse_index_base_imNS_24const_host_device_scalarIfEENS9_IdEENS9_IS5_EEb,@function
_ZN9rocsparseL12csrilu0_hashILj256ELj64ELj1E21rocsparse_complex_numIdEEEviPKiS4_PT2_S4_PiS4_S7_S7_d21rocsparse_index_base_imNS_24const_host_device_scalarIfEENS9_IdEENS9_IS5_EEb: ; @_ZN9rocsparseL12csrilu0_hashILj256ELj64ELj1E21rocsparse_complex_numIdEEEviPKiS4_PT2_S4_PiS4_S7_S7_d21rocsparse_index_base_imNS_24const_host_device_scalarIfEENS9_IdEENS9_IS5_EEb
; %bb.0:
	s_load_dword s3, s[0:1], 0x80
	s_load_dwordx8 s[24:31], s[0:1], 0x58
	s_load_dwordx2 s[4:5], s[0:1], 0x78
	s_load_dwordx2 s[34:35], s[0:1], 0x50
	s_waitcnt lgkmcnt(0)
	s_bitcmp1_b32 s3, 0
	s_cselect_b64 s[8:9], -1, 0
	v_mov_b64_e32 v[2:3], s[30:31]
	s_cmp_eq_u32 s35, 0
	s_cselect_b64 s[14:15], -1, 0
	s_cmp_lg_u32 s35, 0
	s_cselect_b64 s[10:11], -1, 0
	s_or_b64 s[16:17], s[14:15], s[8:9]
	s_xor_b64 s[6:7], s[16:17], -1
	s_and_b64 s[12:13], s[14:15], exec
	s_cselect_b32 s13, 0, s29
	s_cselect_b32 s12, 0, s28
	s_and_b64 vcc, exec, s[16:17]
	scratch_store_dwordx2 off, v[2:3], off
	s_cbranch_vccnz .LBB46_2
; %bb.1:
	s_load_dword s3, s[26:27], 0x0
	s_mov_b64 s[12:13], s[28:29]
	s_waitcnt lgkmcnt(0)
	v_mov_b32_e32 v23, s3
	s_andn2_b64 vcc, exec, s[6:7]
	v_mov_b64_e32 v[12:13], s[12:13]
	s_cbranch_vccz .LBB46_3
	s_branch .LBB46_4
.LBB46_2:
	v_mov_b32_e32 v1, s26
	v_cndmask_b32_e64 v23, v1, 0, s[14:15]
	s_andn2_b64 vcc, exec, s[6:7]
	v_mov_b64_e32 v[12:13], s[12:13]
	s_cbranch_vccnz .LBB46_4
.LBB46_3:
	v_mov_b64_e32 v[2:3], s[28:29]
	flat_load_dwordx2 v[12:13], v[2:3]
.LBB46_4:
	v_cndmask_b32_e64 v1, 0, 1, s[10:11]
	v_mov_b64_e32 v[28:29], 0
	v_cmp_ne_u32_e64 s[6:7], 1, v1
	s_andn2_b64 vcc, exec, s[10:11]
	v_mov_b64_e32 v[26:27], 0
	s_cbranch_vccnz .LBB46_7
; %bb.5:
	s_xor_b64 s[12:13], s[8:9], -1
	s_mov_b64 s[10:11], src_private_base
	s_and_b64 s[8:9], s[8:9], exec
	s_cselect_b32 s3, s11, s31
	s_cselect_b32 s8, 0, s30
	v_mov_b32_e32 v2, s8
	v_mov_b32_e32 v3, s3
	flat_load_dwordx2 v[26:27], v[2:3]
	s_andn2_b64 vcc, exec, s[12:13]
	v_mov_b64_e32 v[28:29], s[4:5]
	s_cbranch_vccnz .LBB46_7
; %bb.6:
	v_mov_b64_e32 v[2:3], s[30:31]
	flat_load_dwordx2 v[28:29], v[2:3] offset:8
.LBB46_7:
	s_load_dword s3, s[0:1], 0x0
	s_lshl_b32 s2, s2, 2
	v_and_b32_e32 v22, 63, v0
	v_and_b32_e32 v1, 0xc0, v0
	v_mov_b32_e32 v2, 0x400
	v_lshrrev_b32_e32 v0, 6, v0
	s_and_b32 s2, s2, 0x3fffffc
	v_lshl_or_b32 v15, v1, 2, v2
	v_or_b32_e32 v0, s2, v0
	v_lshl_or_b32 v2, v22, 2, v15
	v_mov_b32_e32 v3, -1
	s_waitcnt lgkmcnt(0)
	v_cmp_gt_i32_e32 vcc, s3, v0
	ds_write_b32 v2, v3
	s_waitcnt lgkmcnt(0)
	s_and_saveexec_b64 s[2:3], vcc
	s_cbranch_execz .LBB46_85
; %bb.8:
	s_load_dwordx16 s[8:23], s[0:1], 0x8
	v_lshlrev_b32_e32 v0, 2, v0
	v_lshlrev_b32_e32 v24, 2, v1
	s_waitcnt lgkmcnt(0)
	global_load_dword v10, v0, s[18:19]
	s_waitcnt vmcnt(0)
	v_ashrrev_i32_e32 v11, 31, v10
	v_lshlrev_b64 v[2:3], 2, v[10:11]
	v_lshl_add_u64 v[4:5], s[8:9], 0, v[2:3]
	global_load_dwordx2 v[4:5], v[4:5], off
	v_lshl_add_u64 v[2:3], s[14:15], 0, v[2:3]
	global_load_dword v14, v[2:3], off
	s_waitcnt vmcnt(1)
	v_subrev_u32_e32 v16, s34, v4
	v_subrev_u32_e32 v2, s34, v5
	v_add_u32_e32 v0, v16, v22
	v_cmp_lt_i32_e32 vcc, v0, v2
	s_and_saveexec_b64 s[2:3], vcc
	s_cbranch_execz .LBB46_31
; %bb.9:
	s_mov_b64 s[4:5], 0
	v_mov_b32_e32 v3, -1
	s_branch .LBB46_11
.LBB46_10:                              ;   in Loop: Header=BB46_11 Depth=1
	s_or_b64 exec, exec, s[18:19]
	v_add_u32_e32 v0, 64, v0
	v_cmp_ge_i32_e32 vcc, v0, v2
	s_or_b64 s[4:5], vcc, s[4:5]
	s_andn2_b64 exec, exec, s[4:5]
	s_cbranch_execz .LBB46_31
.LBB46_11:                              ; =>This Loop Header: Depth=1
                                        ;     Child Loop BB46_20 Depth 2
	v_ashrrev_i32_e32 v1, 31, v0
	v_lshl_add_u64 v[4:5], v[0:1], 2, s[10:11]
	global_load_dword v1, v[4:5], off
	v_mov_b32_e32 v4, 64
	s_mov_b64 s[26:27], 0
                                        ; implicit-def: $sgpr18_sgpr19
                                        ; implicit-def: $sgpr28_sgpr29
                                        ; implicit-def: $sgpr30_sgpr31
	s_waitcnt vmcnt(0)
	v_mul_lo_u32 v6, v1, 39
	s_branch .LBB46_20
.LBB46_12:                              ;   in Loop: Header=BB46_20 Depth=2
	s_or_b64 exec, exec, s[54:55]
	s_orn2_b64 s[50:51], s[50:51], exec
	s_orn2_b64 s[52:53], s[52:53], exec
.LBB46_13:                              ;   in Loop: Header=BB46_20 Depth=2
	s_or_b64 exec, exec, s[48:49]
	s_and_b64 s[50:51], s[50:51], exec
	s_orn2_b64 s[48:49], s[52:53], exec
.LBB46_14:                              ;   in Loop: Header=BB46_20 Depth=2
	s_or_b64 exec, exec, s[46:47]
	s_orn2_b64 s[50:51], s[50:51], exec
	s_orn2_b64 s[46:47], s[48:49], exec
.LBB46_15:                              ;   in Loop: Header=BB46_20 Depth=2
	s_or_b64 exec, exec, s[44:45]
	s_and_b64 s[48:49], s[50:51], exec
	s_orn2_b64 s[44:45], s[46:47], exec
.LBB46_16:                              ;   in Loop: Header=BB46_20 Depth=2
	s_or_b64 exec, exec, s[42:43]
	s_orn2_b64 s[42:43], s[48:49], exec
	s_orn2_b64 s[44:45], s[44:45], exec
.LBB46_17:                              ;   in Loop: Header=BB46_20 Depth=2
	s_or_b64 exec, exec, s[40:41]
	s_and_b64 s[42:43], s[42:43], exec
	s_orn2_b64 s[40:41], s[44:45], exec
.LBB46_18:                              ;   in Loop: Header=BB46_20 Depth=2
	s_or_b64 exec, exec, s[38:39]
	s_andn2_b64 s[30:31], s[30:31], exec
	s_and_b64 s[38:39], s[42:43], exec
	s_or_b64 s[30:31], s[30:31], s[38:39]
	s_andn2_b64 s[28:29], s[28:29], exec
	s_and_b64 s[38:39], s[40:41], exec
	s_or_b64 s[28:29], s[28:29], s[38:39]
.LBB46_19:                              ;   in Loop: Header=BB46_20 Depth=2
	s_or_b64 exec, exec, s[36:37]
	s_and_b64 s[36:37], exec, s[28:29]
	s_or_b64 s[26:27], s[36:37], s[26:27]
	s_andn2_b64 s[18:19], s[18:19], exec
	s_and_b64 s[36:37], s[30:31], exec
	s_or_b64 s[18:19], s[18:19], s[36:37]
	s_andn2_b64 exec, exec, s[26:27]
	s_cbranch_execz .LBB46_29
.LBB46_20:                              ;   Parent Loop BB46_11 Depth=1
                                        ; =>  This Inner Loop Header: Depth=2
	v_and_b32_e32 v5, 63, v6
	v_lshl_add_u32 v7, v5, 2, v15
	ds_read_b32 v8, v7
	s_or_b64 s[30:31], s[30:31], exec
	s_or_b64 s[28:29], s[28:29], exec
	s_waitcnt lgkmcnt(0)
	v_cmp_ne_u32_e32 vcc, v8, v1
	s_and_saveexec_b64 s[36:37], vcc
	s_cbranch_execz .LBB46_19
; %bb.21:                               ;   in Loop: Header=BB46_20 Depth=2
	ds_cmpst_rtn_b32 v7, v7, v3, v1
	s_mov_b64 s[40:41], -1
	s_mov_b64 s[42:43], 0
	s_waitcnt lgkmcnt(0)
	v_cmp_ne_u32_e32 vcc, -1, v7
	s_and_saveexec_b64 s[38:39], vcc
	s_cbranch_execz .LBB46_18
; %bb.22:                               ;   in Loop: Header=BB46_20 Depth=2
	v_add_u32_e32 v5, 1, v6
	v_and_b32_e32 v5, 63, v5
	v_lshl_add_u32 v7, v5, 2, v15
	ds_read_b32 v8, v7
	s_mov_b64 s[44:45], -1
	s_mov_b64 s[42:43], -1
	s_waitcnt lgkmcnt(0)
	v_cmp_ne_u32_e32 vcc, v8, v1
	s_and_saveexec_b64 s[40:41], vcc
	s_cbranch_execz .LBB46_17
; %bb.23:                               ;   in Loop: Header=BB46_20 Depth=2
	ds_cmpst_rtn_b32 v7, v7, v3, v1
	s_mov_b64 s[48:49], 0
	s_waitcnt lgkmcnt(0)
	v_cmp_ne_u32_e32 vcc, -1, v7
	s_and_saveexec_b64 s[42:43], vcc
	s_cbranch_execz .LBB46_16
; %bb.24:                               ;   in Loop: Header=BB46_20 Depth=2
	v_add_u32_e32 v5, 2, v6
	v_and_b32_e32 v5, 63, v5
	v_lshl_add_u32 v7, v5, 2, v15
	ds_read_b32 v8, v7
	s_mov_b64 s[46:47], -1
	s_mov_b64 s[50:51], -1
	s_waitcnt lgkmcnt(0)
	v_cmp_ne_u32_e32 vcc, v8, v1
	s_and_saveexec_b64 s[44:45], vcc
	s_cbranch_execz .LBB46_15
; %bb.25:                               ;   in Loop: Header=BB46_20 Depth=2
	ds_cmpst_rtn_b32 v7, v7, v3, v1
	s_mov_b64 s[48:49], -1
	s_mov_b64 s[50:51], 0
	s_waitcnt lgkmcnt(0)
	v_cmp_ne_u32_e32 vcc, -1, v7
	s_and_saveexec_b64 s[46:47], vcc
	s_cbranch_execz .LBB46_14
; %bb.26:                               ;   in Loop: Header=BB46_20 Depth=2
	v_add_u32_e32 v5, 3, v6
	v_and_b32_e32 v5, 63, v5
	v_lshl_add_u32 v7, v5, 2, v15
	ds_read_b32 v6, v7
	s_mov_b64 s[52:53], -1
	s_mov_b64 s[50:51], -1
	s_waitcnt lgkmcnt(0)
	v_cmp_ne_u32_e32 vcc, v6, v1
                                        ; implicit-def: $vgpr6
	s_and_saveexec_b64 s[48:49], vcc
	s_cbranch_execz .LBB46_13
; %bb.27:                               ;   in Loop: Header=BB46_20 Depth=2
	ds_cmpst_rtn_b32 v6, v7, v3, v1
	s_mov_b64 s[50:51], 0
	s_waitcnt lgkmcnt(0)
	v_cmp_ne_u32_e32 vcc, -1, v6
                                        ; implicit-def: $vgpr6
	s_and_saveexec_b64 s[54:55], vcc
	s_cbranch_execz .LBB46_12
; %bb.28:                               ;   in Loop: Header=BB46_20 Depth=2
	v_add_u32_e32 v4, -4, v4
	v_cmp_eq_u32_e32 vcc, 0, v4
	s_mov_b64 s[50:51], exec
	v_add_u32_e32 v6, 1, v5
	s_orn2_b64 s[52:53], vcc, exec
	s_branch .LBB46_12
.LBB46_29:                              ;   in Loop: Header=BB46_11 Depth=1
	s_or_b64 exec, exec, s[26:27]
	s_xor_b64 s[18:19], s[18:19], -1
	s_and_saveexec_b64 s[26:27], s[18:19]
	s_xor_b64 s[18:19], exec, s[26:27]
	s_cbranch_execz .LBB46_10
; %bb.30:                               ;   in Loop: Header=BB46_11 Depth=1
	v_lshl_add_u32 v1, v5, 2, v24
	ds_write_b32 v1, v0
	s_branch .LBB46_10
.LBB46_31:
	s_or_b64 exec, exec, s[2:3]
	s_waitcnt vmcnt(0)
	v_cmp_lt_i32_e32 vcc, v16, v14
	s_waitcnt lgkmcnt(0)
	s_and_saveexec_b64 s[4:5], vcc
	s_cbranch_execz .LBB46_61
; %bb.32:
	v_add_u32_e32 v25, 1, v22
	s_mov_b64 s[18:19], 0
	s_branch .LBB46_35
.LBB46_33:                              ;   in Loop: Header=BB46_35 Depth=1
	s_or_b64 exec, exec, s[26:27]
	v_add_u32_e32 v16, 1, v16
	v_cmp_ge_i32_e32 vcc, v16, v14
	s_orn2_b64 s[26:27], vcc, exec
.LBB46_34:                              ;   in Loop: Header=BB46_35 Depth=1
	s_or_b64 exec, exec, s[2:3]
	s_and_b64 s[2:3], exec, s[26:27]
	s_or_b64 s[18:19], s[2:3], s[18:19]
	s_andn2_b64 exec, exec, s[18:19]
	s_cbranch_execz .LBB46_61
.LBB46_35:                              ; =>This Loop Header: Depth=1
                                        ;     Child Loop BB46_36 Depth 2
                                        ;     Child Loop BB46_41 Depth 2
                                        ;       Child Loop BB46_50 Depth 3
	v_ashrrev_i32_e32 v17, 31, v16
	v_lshl_add_u64 v[0:1], v[16:17], 2, s[10:11]
	global_load_dword v0, v[0:1], off
	v_lshl_add_u64 v[18:19], v[16:17], 4, s[12:13]
	global_load_dwordx4 v[2:5], v[18:19], off
	s_mov_b64 s[2:3], 0
	s_waitcnt vmcnt(1)
	v_subrev_u32_e32 v0, s34, v0
	v_ashrrev_i32_e32 v1, 31, v0
	v_lshlrev_b64 v[0:1], 2, v[0:1]
	v_lshl_add_u64 v[8:9], s[8:9], 0, v[0:1]
	v_lshl_add_u64 v[20:21], s[14:15], 0, v[0:1]
	global_load_dword v7, v[8:9], off offset:4
	global_load_dword v6, v[20:21], off
	v_lshl_add_u64 v[0:1], s[16:17], 0, v[0:1]
.LBB46_36:                              ;   Parent Loop BB46_35 Depth=1
                                        ; =>  This Inner Loop Header: Depth=2
	global_load_dword v8, v[0:1], off sc1
	s_waitcnt vmcnt(0)
	v_cmp_ne_u32_e32 vcc, 0, v8
	s_or_b64 s[2:3], vcc, s[2:3]
	s_andn2_b64 exec, exec, s[2:3]
	s_cbranch_execnz .LBB46_36
; %bb.37:                               ;   in Loop: Header=BB46_35 Depth=1
	s_or_b64 exec, exec, s[2:3]
	v_subrev_u32_e32 v17, s34, v7
	v_add_u32_e32 v0, -1, v17
	v_cmp_eq_u32_e32 vcc, -1, v6
	buffer_inv sc1
	s_mov_b64 s[26:27], -1
	v_cndmask_b32_e32 v20, v6, v0, vcc
	v_ashrrev_i32_e32 v21, 31, v20
	v_lshl_add_u64 v[0:1], v[20:21], 4, s[12:13]
	global_load_dwordx4 v[6:9], v[0:1], off
	s_waitcnt vmcnt(0)
	v_cmp_neq_f64_e32 vcc, 0, v[6:7]
	v_cmp_neq_f64_e64 s[2:3], 0, v[8:9]
	s_or_b64 s[28:29], vcc, s[2:3]
	s_and_saveexec_b64 s[2:3], s[28:29]
	s_cbranch_execz .LBB46_34
; %bb.38:                               ;   in Loop: Header=BB46_35 Depth=1
	v_mul_f64 v[0:1], v[8:9], v[8:9]
	v_fmac_f64_e32 v[0:1], v[6:7], v[6:7]
	v_div_scale_f64 v[30:31], s[26:27], v[0:1], v[0:1], 1.0
	v_rcp_f64_e32 v[32:33], v[30:31]
	v_div_scale_f64 v[34:35], vcc, 1.0, v[0:1], 1.0
	v_fma_f64 v[36:37], -v[30:31], v[32:33], 1.0
	v_fmac_f64_e32 v[32:33], v[32:33], v[36:37]
	v_fma_f64 v[36:37], -v[30:31], v[32:33], 1.0
	v_fmac_f64_e32 v[32:33], v[32:33], v[36:37]
	v_mul_f64 v[36:37], v[34:35], v[32:33]
	v_fma_f64 v[30:31], -v[30:31], v[36:37], v[34:35]
	v_div_fmas_f64 v[30:31], v[30:31], v[32:33], v[36:37]
	v_div_fixup_f64 v[30:31], v[30:31], v[0:1], 1.0
	v_mul_f64 v[0:1], v[4:5], v[8:9]
	v_fmac_f64_e32 v[0:1], v[2:3], v[6:7]
	v_mul_f64 v[2:3], v[8:9], -v[2:3]
	v_fmac_f64_e32 v[2:3], v[4:5], v[6:7]
	v_add_u32_e32 v4, v25, v20
	v_mul_f64 v[0:1], v[0:1], v[30:31]
	v_mul_f64 v[2:3], v[2:3], v[30:31]
	v_cmp_lt_i32_e32 vcc, v4, v17
	global_store_dwordx4 v[18:19], v[0:3], off
	s_and_saveexec_b64 s[26:27], vcc
	s_cbranch_execz .LBB46_33
; %bb.39:                               ;   in Loop: Header=BB46_35 Depth=1
	s_mov_b64 s[28:29], 0
	s_branch .LBB46_41
.LBB46_40:                              ;   in Loop: Header=BB46_41 Depth=2
	s_or_b64 exec, exec, s[30:31]
	v_add_u32_e32 v4, 64, v4
	v_cmp_ge_i32_e32 vcc, v4, v17
	s_or_b64 s[28:29], vcc, s[28:29]
	s_andn2_b64 exec, exec, s[28:29]
	s_cbranch_execz .LBB46_33
.LBB46_41:                              ;   Parent Loop BB46_35 Depth=1
                                        ; =>  This Loop Header: Depth=2
                                        ;       Child Loop BB46_50 Depth 3
	v_ashrrev_i32_e32 v5, 31, v4
	v_lshl_add_u64 v[6:7], v[4:5], 2, s[10:11]
	global_load_dword v6, v[6:7], off
	v_mov_b32_e32 v7, 64
	s_mov_b64 s[36:37], 0
                                        ; implicit-def: $sgpr30_sgpr31
                                        ; implicit-def: $sgpr38_sgpr39
                                        ; implicit-def: $sgpr40_sgpr41
	s_waitcnt vmcnt(0)
	v_mul_lo_u32 v9, v6, 39
	s_branch .LBB46_50
.LBB46_42:                              ;   in Loop: Header=BB46_50 Depth=3
	s_or_b64 exec, exec, s[60:61]
	s_orn2_b64 s[56:57], s[56:57], exec
	s_orn2_b64 s[58:59], s[58:59], exec
.LBB46_43:                              ;   in Loop: Header=BB46_50 Depth=3
	s_or_b64 exec, exec, s[54:55]
	s_and_b64 s[56:57], s[56:57], exec
	s_orn2_b64 s[54:55], s[58:59], exec
.LBB46_44:                              ;   in Loop: Header=BB46_50 Depth=3
	s_or_b64 exec, exec, s[52:53]
	s_orn2_b64 s[56:57], s[56:57], exec
	s_orn2_b64 s[52:53], s[54:55], exec
.LBB46_45:                              ;   in Loop: Header=BB46_50 Depth=3
	s_or_b64 exec, exec, s[50:51]
	s_and_b64 s[54:55], s[56:57], exec
	s_orn2_b64 s[50:51], s[52:53], exec
.LBB46_46:                              ;   in Loop: Header=BB46_50 Depth=3
	s_or_b64 exec, exec, s[48:49]
	s_orn2_b64 s[48:49], s[54:55], exec
	s_orn2_b64 s[50:51], s[50:51], exec
.LBB46_47:                              ;   in Loop: Header=BB46_50 Depth=3
	s_or_b64 exec, exec, s[46:47]
	s_and_b64 s[48:49], s[48:49], exec
	s_orn2_b64 s[46:47], s[50:51], exec
.LBB46_48:                              ;   in Loop: Header=BB46_50 Depth=3
	s_or_b64 exec, exec, s[44:45]
	s_andn2_b64 s[40:41], s[40:41], exec
	s_and_b64 s[44:45], s[48:49], exec
	s_or_b64 s[40:41], s[40:41], s[44:45]
	s_andn2_b64 s[38:39], s[38:39], exec
	s_and_b64 s[44:45], s[46:47], exec
	s_or_b64 s[38:39], s[38:39], s[44:45]
.LBB46_49:                              ;   in Loop: Header=BB46_50 Depth=3
	s_or_b64 exec, exec, s[42:43]
	s_and_b64 s[42:43], exec, s[38:39]
	s_or_b64 s[36:37], s[42:43], s[36:37]
	s_andn2_b64 s[30:31], s[30:31], exec
	s_and_b64 s[42:43], s[40:41], exec
	s_or_b64 s[30:31], s[30:31], s[42:43]
	s_andn2_b64 exec, exec, s[36:37]
	s_cbranch_execz .LBB46_59
.LBB46_50:                              ;   Parent Loop BB46_35 Depth=1
                                        ;     Parent Loop BB46_41 Depth=2
                                        ; =>    This Inner Loop Header: Depth=3
	v_and_b32_e32 v8, 63, v9
	v_lshl_add_u32 v18, v8, 2, v15
	ds_read_b32 v18, v18
	s_or_b64 s[40:41], s[40:41], exec
	s_or_b64 s[38:39], s[38:39], exec
	s_waitcnt lgkmcnt(0)
	v_cmp_ne_u32_e32 vcc, -1, v18
	s_and_saveexec_b64 s[42:43], vcc
	s_cbranch_execz .LBB46_49
; %bb.51:                               ;   in Loop: Header=BB46_50 Depth=3
	v_cmp_ne_u32_e32 vcc, v18, v6
	s_mov_b64 s[46:47], -1
	s_mov_b64 s[48:49], 0
	s_and_saveexec_b64 s[44:45], vcc
	s_cbranch_execz .LBB46_48
; %bb.52:                               ;   in Loop: Header=BB46_50 Depth=3
	v_add_u32_e32 v8, 1, v9
	v_and_b32_e32 v8, 63, v8
	v_lshl_add_u32 v18, v8, 2, v15
	ds_read_b32 v18, v18
	s_mov_b64 s[50:51], -1
	s_mov_b64 s[48:49], -1
	s_waitcnt lgkmcnt(0)
	v_cmp_ne_u32_e32 vcc, -1, v18
	s_and_saveexec_b64 s[46:47], vcc
	s_cbranch_execz .LBB46_47
; %bb.53:                               ;   in Loop: Header=BB46_50 Depth=3
	v_cmp_ne_u32_e32 vcc, v18, v6
	s_mov_b64 s[54:55], 0
	s_and_saveexec_b64 s[48:49], vcc
	s_cbranch_execz .LBB46_46
; %bb.54:                               ;   in Loop: Header=BB46_50 Depth=3
	v_add_u32_e32 v8, 2, v9
	v_and_b32_e32 v8, 63, v8
	v_lshl_add_u32 v18, v8, 2, v15
	ds_read_b32 v18, v18
	s_mov_b64 s[52:53], -1
	s_mov_b64 s[56:57], -1
	s_waitcnt lgkmcnt(0)
	v_cmp_ne_u32_e32 vcc, -1, v18
	s_and_saveexec_b64 s[50:51], vcc
	s_cbranch_execz .LBB46_45
; %bb.55:                               ;   in Loop: Header=BB46_50 Depth=3
	v_cmp_ne_u32_e32 vcc, v18, v6
	s_mov_b64 s[54:55], -1
	s_mov_b64 s[56:57], 0
	s_and_saveexec_b64 s[52:53], vcc
	s_cbranch_execz .LBB46_44
; %bb.56:                               ;   in Loop: Header=BB46_50 Depth=3
	v_add_u32_e32 v8, 3, v9
	v_and_b32_e32 v8, 63, v8
	v_lshl_add_u32 v9, v8, 2, v15
	ds_read_b32 v18, v9
	s_mov_b64 s[58:59], -1
	s_mov_b64 s[56:57], -1
                                        ; implicit-def: $vgpr9
	s_waitcnt lgkmcnt(0)
	v_cmp_ne_u32_e32 vcc, -1, v18
	s_and_saveexec_b64 s[54:55], vcc
	s_cbranch_execz .LBB46_43
; %bb.57:                               ;   in Loop: Header=BB46_50 Depth=3
	v_cmp_ne_u32_e32 vcc, v18, v6
	s_mov_b64 s[56:57], 0
                                        ; implicit-def: $vgpr9
	s_and_saveexec_b64 s[60:61], vcc
	s_cbranch_execz .LBB46_42
; %bb.58:                               ;   in Loop: Header=BB46_50 Depth=3
	v_add_u32_e32 v7, -4, v7
	v_cmp_eq_u32_e32 vcc, 0, v7
	s_mov_b64 s[56:57], exec
	v_add_u32_e32 v9, 1, v8
	s_orn2_b64 s[58:59], vcc, exec
	s_branch .LBB46_42
.LBB46_59:                              ;   in Loop: Header=BB46_41 Depth=2
	s_or_b64 exec, exec, s[36:37]
	s_xor_b64 s[30:31], s[30:31], -1
	s_and_saveexec_b64 s[36:37], s[30:31]
	s_xor_b64 s[30:31], exec, s[36:37]
	s_cbranch_execz .LBB46_40
; %bb.60:                               ;   in Loop: Header=BB46_41 Depth=2
	v_lshl_add_u32 v6, v8, 2, v24
	ds_read_b32 v6, v6
	v_lshl_add_u64 v[30:31], v[4:5], 4, s[12:13]
	s_waitcnt lgkmcnt(0)
	v_ashrrev_i32_e32 v7, 31, v6
	v_lshl_add_u64 v[32:33], v[6:7], 4, s[12:13]
	global_load_dwordx4 v[6:9], v[30:31], off
	global_load_dwordx4 v[18:21], v[32:33], off
	s_waitcnt vmcnt(0)
	v_fma_f64 v[18:19], -v[0:1], v[6:7], v[18:19]
	v_fma_f64 v[6:7], -v[2:3], v[6:7], v[20:21]
	v_fmac_f64_e32 v[18:19], v[2:3], v[8:9]
	v_fma_f64 v[20:21], -v[0:1], v[8:9], v[6:7]
	global_store_dwordx4 v[32:33], v[18:21], off
	s_branch .LBB46_40
.LBB46_61:
	s_or_b64 exec, exec, s[4:5]
	v_cmp_lt_i32_e32 vcc, -1, v14
	s_and_saveexec_b64 s[2:3], vcc
	s_cbranch_execz .LBB46_83
; %bb.62:
	v_mov_b32_e32 v15, 0
	v_lshl_add_u64 v[4:5], v[14:15], 4, s[12:13]
	global_load_dwordx4 v[0:3], v[4:5], off
                                        ; implicit-def: $vgpr14_vgpr15
	s_waitcnt vmcnt(0)
	v_xor_b32_e32 v7, 0x80000000, v1
	v_cmp_gt_f64_e32 vcc, 0, v[0:1]
	v_xor_b32_e32 v8, 0x80000000, v3
	v_mov_b32_e32 v6, v0
	v_cndmask_b32_e32 v7, v1, v7, vcc
	v_cmp_gt_f64_e32 vcc, 0, v[2:3]
	s_nop 1
	v_cndmask_b32_e32 v9, v3, v8, vcc
	v_mov_b32_e32 v8, v2
	v_cmp_ngt_f64_e32 vcc, v[6:7], v[8:9]
	s_and_saveexec_b64 s[4:5], vcc
	s_xor_b64 s[4:5], exec, s[4:5]
	s_cbranch_execz .LBB46_66
; %bb.63:
	v_mov_b64_e32 v[14:15], 0
	v_cmp_neq_f64_e32 vcc, 0, v[2:3]
	s_and_saveexec_b64 s[8:9], vcc
	s_cbranch_execz .LBB46_65
; %bb.64:
	v_div_scale_f64 v[14:15], s[10:11], v[8:9], v[8:9], v[6:7]
	v_rcp_f64_e32 v[16:17], v[14:15]
	v_div_scale_f64 v[18:19], vcc, v[6:7], v[8:9], v[6:7]
	s_mov_b32 s10, 0
	v_fma_f64 v[20:21], -v[14:15], v[16:17], 1.0
	v_fmac_f64_e32 v[16:17], v[16:17], v[20:21]
	v_fma_f64 v[20:21], -v[14:15], v[16:17], 1.0
	v_fmac_f64_e32 v[16:17], v[16:17], v[20:21]
	v_mul_f64 v[20:21], v[18:19], v[16:17]
	v_fma_f64 v[14:15], -v[14:15], v[20:21], v[18:19]
	v_div_fmas_f64 v[14:15], v[14:15], v[16:17], v[20:21]
	v_div_fixup_f64 v[6:7], v[14:15], v[8:9], v[6:7]
	v_fma_f64 v[6:7], v[6:7], v[6:7], 1.0
	s_brev_b32 s11, 8
	v_mov_b32_e32 v14, 0x100
	v_cmp_gt_f64_e32 vcc, s[10:11], v[6:7]
	s_nop 1
	v_cndmask_b32_e32 v14, 0, v14, vcc
	v_ldexp_f64 v[6:7], v[6:7], v14
	v_rsq_f64_e32 v[14:15], v[6:7]
	s_nop 0
	v_mul_f64 v[16:17], v[6:7], v[14:15]
	v_mul_f64 v[14:15], v[14:15], 0.5
	v_fma_f64 v[18:19], -v[14:15], v[16:17], 0.5
	v_fmac_f64_e32 v[16:17], v[16:17], v[18:19]
	v_fma_f64 v[20:21], -v[16:17], v[16:17], v[6:7]
	v_fmac_f64_e32 v[14:15], v[14:15], v[18:19]
	v_fmac_f64_e32 v[16:17], v[20:21], v[14:15]
	v_fma_f64 v[18:19], -v[16:17], v[16:17], v[6:7]
	v_fmac_f64_e32 v[16:17], v[18:19], v[14:15]
	v_mov_b32_e32 v14, 0xffffff80
	v_cndmask_b32_e32 v14, 0, v14, vcc
	v_ldexp_f64 v[14:15], v[16:17], v14
	v_mov_b32_e32 v16, 0x260
	v_cmp_class_f64_e32 vcc, v[6:7], v16
	s_nop 1
	v_cndmask_b32_e32 v7, v15, v7, vcc
	v_cndmask_b32_e32 v6, v14, v6, vcc
	v_mul_f64 v[14:15], v[8:9], v[6:7]
.LBB46_65:
	s_or_b64 exec, exec, s[8:9]
                                        ; implicit-def: $vgpr6_vgpr7
                                        ; implicit-def: $vgpr8_vgpr9
.LBB46_66:
	s_andn2_saveexec_b64 s[4:5], s[4:5]
	s_cbranch_execz .LBB46_68
; %bb.67:
	v_div_scale_f64 v[14:15], s[8:9], v[6:7], v[6:7], v[8:9]
	v_rcp_f64_e32 v[16:17], v[14:15]
	v_div_scale_f64 v[18:19], vcc, v[8:9], v[6:7], v[8:9]
	s_mov_b32 s8, 0
	v_fma_f64 v[20:21], -v[14:15], v[16:17], 1.0
	v_fmac_f64_e32 v[16:17], v[16:17], v[20:21]
	v_fma_f64 v[20:21], -v[14:15], v[16:17], 1.0
	v_fmac_f64_e32 v[16:17], v[16:17], v[20:21]
	v_mul_f64 v[20:21], v[18:19], v[16:17]
	v_fma_f64 v[14:15], -v[14:15], v[20:21], v[18:19]
	v_div_fmas_f64 v[14:15], v[14:15], v[16:17], v[20:21]
	v_div_fixup_f64 v[8:9], v[14:15], v[6:7], v[8:9]
	v_fma_f64 v[8:9], v[8:9], v[8:9], 1.0
	s_brev_b32 s9, 8
	v_mov_b32_e32 v14, 0x100
	v_cmp_gt_f64_e32 vcc, s[8:9], v[8:9]
	s_nop 1
	v_cndmask_b32_e32 v14, 0, v14, vcc
	v_ldexp_f64 v[8:9], v[8:9], v14
	v_rsq_f64_e32 v[14:15], v[8:9]
	s_nop 0
	v_mul_f64 v[16:17], v[8:9], v[14:15]
	v_mul_f64 v[14:15], v[14:15], 0.5
	v_fma_f64 v[18:19], -v[14:15], v[16:17], 0.5
	v_fmac_f64_e32 v[16:17], v[16:17], v[18:19]
	v_fma_f64 v[20:21], -v[16:17], v[16:17], v[8:9]
	v_fmac_f64_e32 v[14:15], v[14:15], v[18:19]
	v_fmac_f64_e32 v[16:17], v[20:21], v[14:15]
	v_fma_f64 v[18:19], -v[16:17], v[16:17], v[8:9]
	v_fmac_f64_e32 v[16:17], v[18:19], v[14:15]
	v_mov_b32_e32 v14, 0xffffff80
	v_cndmask_b32_e32 v14, 0, v14, vcc
	v_ldexp_f64 v[14:15], v[16:17], v14
	v_mov_b32_e32 v16, 0x260
	v_cmp_class_f64_e32 vcc, v[8:9], v16
	s_nop 1
	v_cndmask_b32_e32 v9, v15, v9, vcc
	v_cndmask_b32_e32 v8, v14, v8, vcc
	v_mul_f64 v[14:15], v[6:7], v[8:9]
.LBB46_68:
	s_or_b64 exec, exec, s[4:5]
	v_cmp_eq_u32_e64 s[4:5], 0, v22
	s_and_b64 vcc, exec, s[6:7]
	s_mov_b64 s[6:7], -1
	s_cbranch_vccnz .LBB46_72
; %bb.69:
	s_cmp_eq_u64 s[24:25], 8
	v_cvt_f64_f32_e32 v[6:7], v23
	s_cselect_b64 vcc, -1, 0
	v_cndmask_b32_e32 v7, v7, v13, vcc
	v_cndmask_b32_e32 v6, v6, v12, vcc
	v_cmp_le_f64_e32 vcc, v[14:15], v[6:7]
	s_and_b64 s[8:9], s[4:5], vcc
	s_and_saveexec_b64 s[6:7], s[8:9]
	s_cbranch_execz .LBB46_71
; %bb.70:
	global_store_dwordx4 v[4:5], v[26:29], off
	buffer_wbl2 sc1
	s_waitcnt vmcnt(0)
	buffer_inv sc1
.LBB46_71:
	s_or_b64 exec, exec, s[6:7]
	s_mov_b64 s[6:7], 0
.LBB46_72:
	s_andn2_b64 vcc, exec, s[6:7]
	s_cbranch_vccnz .LBB46_83
; %bb.73:
	s_load_dwordx2 s[0:1], s[0:1], 0x48
	v_add_u32_e32 v4, s34, v10
	s_waitcnt lgkmcnt(0)
	v_cmp_ge_f64_e32 vcc, s[0:1], v[14:15]
	s_and_b64 s[6:7], s[4:5], vcc
	s_and_saveexec_b64 s[0:1], s[6:7]
	s_cbranch_execz .LBB46_78
; %bb.74:
	s_mov_b64 s[6:7], exec
	s_brev_b32 s8, -2
.LBB46_75:                              ; =>This Inner Loop Header: Depth=1
	s_ff1_i32_b64 s9, s[6:7]
	v_readlane_b32 s12, v4, s9
	s_lshl_b64 s[10:11], 1, s9
	s_min_i32 s8, s8, s12
	s_andn2_b64 s[6:7], s[6:7], s[10:11]
	s_cmp_lg_u64 s[6:7], 0
	s_cbranch_scc1 .LBB46_75
; %bb.76:
	v_mbcnt_lo_u32_b32 v5, exec_lo, 0
	v_mbcnt_hi_u32_b32 v5, exec_hi, v5
	v_cmp_eq_u32_e32 vcc, 0, v5
	s_and_saveexec_b64 s[6:7], vcc
	s_xor_b64 s[6:7], exec, s[6:7]
	s_cbranch_execz .LBB46_78
; %bb.77:
	v_mov_b32_e32 v5, 0
	v_mov_b32_e32 v6, s8
	global_atomic_smin v5, v6, s[22:23]
.LBB46_78:
	s_or_b64 exec, exec, s[0:1]
	v_cmp_eq_f64_e32 vcc, 0, v[0:1]
	v_cmp_eq_f64_e64 s[0:1], 0, v[2:3]
	s_and_b64 s[0:1], vcc, s[0:1]
	s_and_b64 s[0:1], s[4:5], s[0:1]
	s_and_b64 exec, exec, s[0:1]
	s_cbranch_execz .LBB46_83
; %bb.79:
	s_mov_b64 s[0:1], exec
	s_brev_b32 s4, -2
.LBB46_80:                              ; =>This Inner Loop Header: Depth=1
	s_ff1_i32_b64 s5, s[0:1]
	v_readlane_b32 s8, v4, s5
	s_lshl_b64 s[6:7], 1, s5
	s_min_i32 s4, s4, s8
	s_andn2_b64 s[0:1], s[0:1], s[6:7]
	s_cmp_lg_u64 s[0:1], 0
	s_cbranch_scc1 .LBB46_80
; %bb.81:
	v_mbcnt_lo_u32_b32 v0, exec_lo, 0
	v_mbcnt_hi_u32_b32 v0, exec_hi, v0
	v_cmp_eq_u32_e32 vcc, 0, v0
	s_and_saveexec_b64 s[0:1], vcc
	s_xor_b64 s[0:1], exec, s[0:1]
	s_cbranch_execz .LBB46_83
; %bb.82:
	v_mov_b32_e32 v0, 0
	v_mov_b32_e32 v1, s4
	global_atomic_smin v0, v1, s[20:21]
.LBB46_83:
	s_or_b64 exec, exec, s[2:3]
	v_cmp_eq_u32_e32 vcc, 0, v22
	buffer_wbl2 sc1
	s_waitcnt vmcnt(0)
	buffer_inv sc1
	s_and_b64 exec, exec, vcc
	s_cbranch_execz .LBB46_85
; %bb.84:
	v_lshl_add_u64 v[0:1], v[10:11], 2, s[16:17]
	v_mov_b32_e32 v2, 1
	buffer_wbl2 sc1
	global_store_dword v[0:1], v2, off sc1
.LBB46_85:
	s_endpgm
	.section	.rodata,"a",@progbits
	.p2align	6, 0x0
	.amdhsa_kernel _ZN9rocsparseL12csrilu0_hashILj256ELj64ELj1E21rocsparse_complex_numIdEEEviPKiS4_PT2_S4_PiS4_S7_S7_d21rocsparse_index_base_imNS_24const_host_device_scalarIfEENS9_IdEENS9_IS5_EEb
		.amdhsa_group_segment_fixed_size 2048
		.amdhsa_private_segment_fixed_size 16
		.amdhsa_kernarg_size 132
		.amdhsa_user_sgpr_count 2
		.amdhsa_user_sgpr_dispatch_ptr 0
		.amdhsa_user_sgpr_queue_ptr 0
		.amdhsa_user_sgpr_kernarg_segment_ptr 1
		.amdhsa_user_sgpr_dispatch_id 0
		.amdhsa_user_sgpr_kernarg_preload_length 0
		.amdhsa_user_sgpr_kernarg_preload_offset 0
		.amdhsa_user_sgpr_private_segment_size 0
		.amdhsa_uses_dynamic_stack 0
		.amdhsa_enable_private_segment 1
		.amdhsa_system_sgpr_workgroup_id_x 1
		.amdhsa_system_sgpr_workgroup_id_y 0
		.amdhsa_system_sgpr_workgroup_id_z 0
		.amdhsa_system_sgpr_workgroup_info 0
		.amdhsa_system_vgpr_workitem_id 0
		.amdhsa_next_free_vgpr 38
		.amdhsa_next_free_sgpr 62
		.amdhsa_accum_offset 40
		.amdhsa_reserve_vcc 1
		.amdhsa_float_round_mode_32 0
		.amdhsa_float_round_mode_16_64 0
		.amdhsa_float_denorm_mode_32 3
		.amdhsa_float_denorm_mode_16_64 3
		.amdhsa_dx10_clamp 1
		.amdhsa_ieee_mode 1
		.amdhsa_fp16_overflow 0
		.amdhsa_tg_split 0
		.amdhsa_exception_fp_ieee_invalid_op 0
		.amdhsa_exception_fp_denorm_src 0
		.amdhsa_exception_fp_ieee_div_zero 0
		.amdhsa_exception_fp_ieee_overflow 0
		.amdhsa_exception_fp_ieee_underflow 0
		.amdhsa_exception_fp_ieee_inexact 0
		.amdhsa_exception_int_div_zero 0
	.end_amdhsa_kernel
	.section	.text._ZN9rocsparseL12csrilu0_hashILj256ELj64ELj1E21rocsparse_complex_numIdEEEviPKiS4_PT2_S4_PiS4_S7_S7_d21rocsparse_index_base_imNS_24const_host_device_scalarIfEENS9_IdEENS9_IS5_EEb,"axG",@progbits,_ZN9rocsparseL12csrilu0_hashILj256ELj64ELj1E21rocsparse_complex_numIdEEEviPKiS4_PT2_S4_PiS4_S7_S7_d21rocsparse_index_base_imNS_24const_host_device_scalarIfEENS9_IdEENS9_IS5_EEb,comdat
.Lfunc_end46:
	.size	_ZN9rocsparseL12csrilu0_hashILj256ELj64ELj1E21rocsparse_complex_numIdEEEviPKiS4_PT2_S4_PiS4_S7_S7_d21rocsparse_index_base_imNS_24const_host_device_scalarIfEENS9_IdEENS9_IS5_EEb, .Lfunc_end46-_ZN9rocsparseL12csrilu0_hashILj256ELj64ELj1E21rocsparse_complex_numIdEEEviPKiS4_PT2_S4_PiS4_S7_S7_d21rocsparse_index_base_imNS_24const_host_device_scalarIfEENS9_IdEENS9_IS5_EEb
                                        ; -- End function
	.set _ZN9rocsparseL12csrilu0_hashILj256ELj64ELj1E21rocsparse_complex_numIdEEEviPKiS4_PT2_S4_PiS4_S7_S7_d21rocsparse_index_base_imNS_24const_host_device_scalarIfEENS9_IdEENS9_IS5_EEb.num_vgpr, 38
	.set _ZN9rocsparseL12csrilu0_hashILj256ELj64ELj1E21rocsparse_complex_numIdEEEviPKiS4_PT2_S4_PiS4_S7_S7_d21rocsparse_index_base_imNS_24const_host_device_scalarIfEENS9_IdEENS9_IS5_EEb.num_agpr, 0
	.set _ZN9rocsparseL12csrilu0_hashILj256ELj64ELj1E21rocsparse_complex_numIdEEEviPKiS4_PT2_S4_PiS4_S7_S7_d21rocsparse_index_base_imNS_24const_host_device_scalarIfEENS9_IdEENS9_IS5_EEb.numbered_sgpr, 62
	.set _ZN9rocsparseL12csrilu0_hashILj256ELj64ELj1E21rocsparse_complex_numIdEEEviPKiS4_PT2_S4_PiS4_S7_S7_d21rocsparse_index_base_imNS_24const_host_device_scalarIfEENS9_IdEENS9_IS5_EEb.num_named_barrier, 0
	.set _ZN9rocsparseL12csrilu0_hashILj256ELj64ELj1E21rocsparse_complex_numIdEEEviPKiS4_PT2_S4_PiS4_S7_S7_d21rocsparse_index_base_imNS_24const_host_device_scalarIfEENS9_IdEENS9_IS5_EEb.private_seg_size, 16
	.set _ZN9rocsparseL12csrilu0_hashILj256ELj64ELj1E21rocsparse_complex_numIdEEEviPKiS4_PT2_S4_PiS4_S7_S7_d21rocsparse_index_base_imNS_24const_host_device_scalarIfEENS9_IdEENS9_IS5_EEb.uses_vcc, 1
	.set _ZN9rocsparseL12csrilu0_hashILj256ELj64ELj1E21rocsparse_complex_numIdEEEviPKiS4_PT2_S4_PiS4_S7_S7_d21rocsparse_index_base_imNS_24const_host_device_scalarIfEENS9_IdEENS9_IS5_EEb.uses_flat_scratch, 0
	.set _ZN9rocsparseL12csrilu0_hashILj256ELj64ELj1E21rocsparse_complex_numIdEEEviPKiS4_PT2_S4_PiS4_S7_S7_d21rocsparse_index_base_imNS_24const_host_device_scalarIfEENS9_IdEENS9_IS5_EEb.has_dyn_sized_stack, 0
	.set _ZN9rocsparseL12csrilu0_hashILj256ELj64ELj1E21rocsparse_complex_numIdEEEviPKiS4_PT2_S4_PiS4_S7_S7_d21rocsparse_index_base_imNS_24const_host_device_scalarIfEENS9_IdEENS9_IS5_EEb.has_recursion, 0
	.set _ZN9rocsparseL12csrilu0_hashILj256ELj64ELj1E21rocsparse_complex_numIdEEEviPKiS4_PT2_S4_PiS4_S7_S7_d21rocsparse_index_base_imNS_24const_host_device_scalarIfEENS9_IdEENS9_IS5_EEb.has_indirect_call, 0
	.section	.AMDGPU.csdata,"",@progbits
; Kernel info:
; codeLenInByte = 3104
; TotalNumSgprs: 68
; NumVgprs: 38
; NumAgprs: 0
; TotalNumVgprs: 38
; ScratchSize: 16
; MemoryBound: 0
; FloatMode: 240
; IeeeMode: 1
; LDSByteSize: 2048 bytes/workgroup (compile time only)
; SGPRBlocks: 8
; VGPRBlocks: 4
; NumSGPRsForWavesPerEU: 68
; NumVGPRsForWavesPerEU: 38
; AccumOffset: 40
; Occupancy: 8
; WaveLimiterHint : 1
; COMPUTE_PGM_RSRC2:SCRATCH_EN: 1
; COMPUTE_PGM_RSRC2:USER_SGPR: 2
; COMPUTE_PGM_RSRC2:TRAP_HANDLER: 0
; COMPUTE_PGM_RSRC2:TGID_X_EN: 1
; COMPUTE_PGM_RSRC2:TGID_Y_EN: 0
; COMPUTE_PGM_RSRC2:TGID_Z_EN: 0
; COMPUTE_PGM_RSRC2:TIDIG_COMP_CNT: 0
; COMPUTE_PGM_RSRC3_GFX90A:ACCUM_OFFSET: 9
; COMPUTE_PGM_RSRC3_GFX90A:TG_SPLIT: 0
	.section	.text._ZN9rocsparseL12csrilu0_hashILj256ELj64ELj2E21rocsparse_complex_numIdEEEviPKiS4_PT2_S4_PiS4_S7_S7_d21rocsparse_index_base_imNS_24const_host_device_scalarIfEENS9_IdEENS9_IS5_EEb,"axG",@progbits,_ZN9rocsparseL12csrilu0_hashILj256ELj64ELj2E21rocsparse_complex_numIdEEEviPKiS4_PT2_S4_PiS4_S7_S7_d21rocsparse_index_base_imNS_24const_host_device_scalarIfEENS9_IdEENS9_IS5_EEb,comdat
	.globl	_ZN9rocsparseL12csrilu0_hashILj256ELj64ELj2E21rocsparse_complex_numIdEEEviPKiS4_PT2_S4_PiS4_S7_S7_d21rocsparse_index_base_imNS_24const_host_device_scalarIfEENS9_IdEENS9_IS5_EEb ; -- Begin function _ZN9rocsparseL12csrilu0_hashILj256ELj64ELj2E21rocsparse_complex_numIdEEEviPKiS4_PT2_S4_PiS4_S7_S7_d21rocsparse_index_base_imNS_24const_host_device_scalarIfEENS9_IdEENS9_IS5_EEb
	.p2align	8
	.type	_ZN9rocsparseL12csrilu0_hashILj256ELj64ELj2E21rocsparse_complex_numIdEEEviPKiS4_PT2_S4_PiS4_S7_S7_d21rocsparse_index_base_imNS_24const_host_device_scalarIfEENS9_IdEENS9_IS5_EEb,@function
_ZN9rocsparseL12csrilu0_hashILj256ELj64ELj2E21rocsparse_complex_numIdEEEviPKiS4_PT2_S4_PiS4_S7_S7_d21rocsparse_index_base_imNS_24const_host_device_scalarIfEENS9_IdEENS9_IS5_EEb: ; @_ZN9rocsparseL12csrilu0_hashILj256ELj64ELj2E21rocsparse_complex_numIdEEEviPKiS4_PT2_S4_PiS4_S7_S7_d21rocsparse_index_base_imNS_24const_host_device_scalarIfEENS9_IdEENS9_IS5_EEb
; %bb.0:
	s_load_dword s3, s[0:1], 0x80
	s_load_dwordx8 s[24:31], s[0:1], 0x58
	s_load_dwordx2 s[4:5], s[0:1], 0x78
	s_load_dwordx2 s[34:35], s[0:1], 0x50
	s_waitcnt lgkmcnt(0)
	s_bitcmp1_b32 s3, 0
	s_cselect_b64 s[8:9], -1, 0
	v_mov_b64_e32 v[2:3], s[30:31]
	s_cmp_eq_u32 s35, 0
	s_cselect_b64 s[14:15], -1, 0
	s_cmp_lg_u32 s35, 0
	s_cselect_b64 s[10:11], -1, 0
	s_or_b64 s[16:17], s[14:15], s[8:9]
	s_xor_b64 s[6:7], s[16:17], -1
	s_and_b64 s[12:13], s[14:15], exec
	s_cselect_b32 s13, 0, s29
	s_cselect_b32 s12, 0, s28
	s_and_b64 vcc, exec, s[16:17]
	scratch_store_dwordx2 off, v[2:3], off
	s_cbranch_vccnz .LBB47_2
; %bb.1:
	s_load_dword s3, s[26:27], 0x0
	s_mov_b64 s[12:13], s[28:29]
	s_waitcnt lgkmcnt(0)
	v_mov_b32_e32 v23, s3
	s_andn2_b64 vcc, exec, s[6:7]
	v_mov_b64_e32 v[12:13], s[12:13]
	s_cbranch_vccz .LBB47_3
	s_branch .LBB47_4
.LBB47_2:
	v_mov_b32_e32 v1, s26
	v_cndmask_b32_e64 v23, v1, 0, s[14:15]
	s_andn2_b64 vcc, exec, s[6:7]
	v_mov_b64_e32 v[12:13], s[12:13]
	s_cbranch_vccnz .LBB47_4
.LBB47_3:
	v_mov_b64_e32 v[2:3], s[28:29]
	flat_load_dwordx2 v[12:13], v[2:3]
.LBB47_4:
	v_cndmask_b32_e64 v1, 0, 1, s[10:11]
	v_mov_b64_e32 v[28:29], 0
	v_cmp_ne_u32_e64 s[6:7], 1, v1
	s_andn2_b64 vcc, exec, s[10:11]
	v_mov_b64_e32 v[26:27], 0
	s_cbranch_vccnz .LBB47_7
; %bb.5:
	s_xor_b64 s[12:13], s[8:9], -1
	s_mov_b64 s[10:11], src_private_base
	s_and_b64 s[8:9], s[8:9], exec
	s_cselect_b32 s3, s11, s31
	s_cselect_b32 s8, 0, s30
	v_mov_b32_e32 v2, s8
	v_mov_b32_e32 v3, s3
	flat_load_dwordx2 v[26:27], v[2:3]
	s_andn2_b64 vcc, exec, s[12:13]
	v_mov_b64_e32 v[28:29], s[4:5]
	s_cbranch_vccnz .LBB47_7
; %bb.6:
	v_mov_b64_e32 v[2:3], s[30:31]
	flat_load_dwordx2 v[28:29], v[2:3] offset:8
.LBB47_7:
	s_load_dword s3, s[0:1], 0x0
	v_lshlrev_b32_e32 v1, 1, v0
	s_lshl_b32 s2, s2, 2
	v_and_b32_e32 v22, 63, v0
	v_and_b32_e32 v1, 0x180, v1
	v_mov_b32_e32 v2, 0x800
	v_lshrrev_b32_e32 v0, 6, v0
	s_and_b32 s2, s2, 0x3fffffc
	v_lshl_or_b32 v15, v1, 2, v2
	v_or_b32_e32 v0, s2, v0
	v_lshl_or_b32 v2, v22, 2, v15
	v_mov_b32_e32 v3, -1
	s_waitcnt lgkmcnt(0)
	v_cmp_gt_i32_e32 vcc, s3, v0
	ds_write2st64_b32 v2, v3, v3 offset1:1
	s_waitcnt lgkmcnt(0)
	s_and_saveexec_b64 s[2:3], vcc
	s_cbranch_execz .LBB47_85
; %bb.8:
	s_load_dwordx16 s[8:23], s[0:1], 0x8
	v_lshlrev_b32_e32 v0, 2, v0
	v_lshlrev_b32_e32 v24, 2, v1
	s_waitcnt lgkmcnt(0)
	global_load_dword v10, v0, s[18:19]
	s_waitcnt vmcnt(0)
	v_ashrrev_i32_e32 v11, 31, v10
	v_lshlrev_b64 v[2:3], 2, v[10:11]
	v_lshl_add_u64 v[4:5], s[8:9], 0, v[2:3]
	global_load_dwordx2 v[4:5], v[4:5], off
	v_lshl_add_u64 v[2:3], s[14:15], 0, v[2:3]
	global_load_dword v14, v[2:3], off
	s_waitcnt vmcnt(1)
	v_subrev_u32_e32 v16, s34, v4
	v_subrev_u32_e32 v2, s34, v5
	v_add_u32_e32 v0, v16, v22
	v_cmp_lt_i32_e32 vcc, v0, v2
	s_and_saveexec_b64 s[2:3], vcc
	s_cbranch_execz .LBB47_31
; %bb.9:
	s_mov_b64 s[4:5], 0
	s_movk_i32 s33, 0x67
	v_mov_b32_e32 v3, -1
	s_branch .LBB47_11
.LBB47_10:                              ;   in Loop: Header=BB47_11 Depth=1
	s_or_b64 exec, exec, s[18:19]
	v_add_u32_e32 v0, 64, v0
	v_cmp_ge_i32_e32 vcc, v0, v2
	s_or_b64 s[4:5], vcc, s[4:5]
	s_andn2_b64 exec, exec, s[4:5]
	s_cbranch_execz .LBB47_31
.LBB47_11:                              ; =>This Loop Header: Depth=1
                                        ;     Child Loop BB47_20 Depth 2
	v_ashrrev_i32_e32 v1, 31, v0
	v_lshl_add_u64 v[4:5], v[0:1], 2, s[10:11]
	global_load_dword v1, v[4:5], off
	v_mov_b32_e32 v4, 0x80
	s_mov_b64 s[26:27], 0
                                        ; implicit-def: $sgpr18_sgpr19
                                        ; implicit-def: $sgpr28_sgpr29
                                        ; implicit-def: $sgpr30_sgpr31
	s_waitcnt vmcnt(0)
	v_mul_lo_u32 v6, v1, s33
	s_branch .LBB47_20
.LBB47_12:                              ;   in Loop: Header=BB47_20 Depth=2
	s_or_b64 exec, exec, s[54:55]
	s_orn2_b64 s[50:51], s[50:51], exec
	s_orn2_b64 s[52:53], s[52:53], exec
.LBB47_13:                              ;   in Loop: Header=BB47_20 Depth=2
	s_or_b64 exec, exec, s[48:49]
	s_and_b64 s[50:51], s[50:51], exec
	s_orn2_b64 s[48:49], s[52:53], exec
.LBB47_14:                              ;   in Loop: Header=BB47_20 Depth=2
	s_or_b64 exec, exec, s[46:47]
	s_orn2_b64 s[50:51], s[50:51], exec
	s_orn2_b64 s[46:47], s[48:49], exec
.LBB47_15:                              ;   in Loop: Header=BB47_20 Depth=2
	s_or_b64 exec, exec, s[44:45]
	s_and_b64 s[48:49], s[50:51], exec
	s_orn2_b64 s[44:45], s[46:47], exec
.LBB47_16:                              ;   in Loop: Header=BB47_20 Depth=2
	s_or_b64 exec, exec, s[42:43]
	s_orn2_b64 s[42:43], s[48:49], exec
	s_orn2_b64 s[44:45], s[44:45], exec
.LBB47_17:                              ;   in Loop: Header=BB47_20 Depth=2
	s_or_b64 exec, exec, s[40:41]
	s_and_b64 s[42:43], s[42:43], exec
	s_orn2_b64 s[40:41], s[44:45], exec
.LBB47_18:                              ;   in Loop: Header=BB47_20 Depth=2
	s_or_b64 exec, exec, s[38:39]
	s_andn2_b64 s[30:31], s[30:31], exec
	s_and_b64 s[38:39], s[42:43], exec
	s_or_b64 s[30:31], s[30:31], s[38:39]
	s_andn2_b64 s[28:29], s[28:29], exec
	s_and_b64 s[38:39], s[40:41], exec
	s_or_b64 s[28:29], s[28:29], s[38:39]
.LBB47_19:                              ;   in Loop: Header=BB47_20 Depth=2
	s_or_b64 exec, exec, s[36:37]
	s_and_b64 s[36:37], exec, s[28:29]
	s_or_b64 s[26:27], s[36:37], s[26:27]
	s_andn2_b64 s[18:19], s[18:19], exec
	s_and_b64 s[36:37], s[30:31], exec
	s_or_b64 s[18:19], s[18:19], s[36:37]
	s_andn2_b64 exec, exec, s[26:27]
	s_cbranch_execz .LBB47_29
.LBB47_20:                              ;   Parent Loop BB47_11 Depth=1
                                        ; =>  This Inner Loop Header: Depth=2
	v_and_b32_e32 v5, 0x7f, v6
	v_lshl_add_u32 v7, v5, 2, v15
	ds_read_b32 v8, v7
	s_or_b64 s[30:31], s[30:31], exec
	s_or_b64 s[28:29], s[28:29], exec
	s_waitcnt lgkmcnt(0)
	v_cmp_ne_u32_e32 vcc, v8, v1
	s_and_saveexec_b64 s[36:37], vcc
	s_cbranch_execz .LBB47_19
; %bb.21:                               ;   in Loop: Header=BB47_20 Depth=2
	ds_cmpst_rtn_b32 v7, v7, v3, v1
	s_mov_b64 s[40:41], -1
	s_mov_b64 s[42:43], 0
	s_waitcnt lgkmcnt(0)
	v_cmp_ne_u32_e32 vcc, -1, v7
	s_and_saveexec_b64 s[38:39], vcc
	s_cbranch_execz .LBB47_18
; %bb.22:                               ;   in Loop: Header=BB47_20 Depth=2
	v_add_u32_e32 v5, 1, v6
	v_and_b32_e32 v5, 0x7f, v5
	v_lshl_add_u32 v7, v5, 2, v15
	ds_read_b32 v8, v7
	s_mov_b64 s[44:45], -1
	s_mov_b64 s[42:43], -1
	s_waitcnt lgkmcnt(0)
	v_cmp_ne_u32_e32 vcc, v8, v1
	s_and_saveexec_b64 s[40:41], vcc
	s_cbranch_execz .LBB47_17
; %bb.23:                               ;   in Loop: Header=BB47_20 Depth=2
	ds_cmpst_rtn_b32 v7, v7, v3, v1
	s_mov_b64 s[48:49], 0
	s_waitcnt lgkmcnt(0)
	v_cmp_ne_u32_e32 vcc, -1, v7
	s_and_saveexec_b64 s[42:43], vcc
	s_cbranch_execz .LBB47_16
; %bb.24:                               ;   in Loop: Header=BB47_20 Depth=2
	v_add_u32_e32 v5, 2, v6
	v_and_b32_e32 v5, 0x7f, v5
	v_lshl_add_u32 v7, v5, 2, v15
	ds_read_b32 v8, v7
	s_mov_b64 s[46:47], -1
	s_mov_b64 s[50:51], -1
	s_waitcnt lgkmcnt(0)
	v_cmp_ne_u32_e32 vcc, v8, v1
	s_and_saveexec_b64 s[44:45], vcc
	s_cbranch_execz .LBB47_15
; %bb.25:                               ;   in Loop: Header=BB47_20 Depth=2
	ds_cmpst_rtn_b32 v7, v7, v3, v1
	s_mov_b64 s[48:49], -1
	s_mov_b64 s[50:51], 0
	s_waitcnt lgkmcnt(0)
	v_cmp_ne_u32_e32 vcc, -1, v7
	s_and_saveexec_b64 s[46:47], vcc
	s_cbranch_execz .LBB47_14
; %bb.26:                               ;   in Loop: Header=BB47_20 Depth=2
	v_add_u32_e32 v5, 3, v6
	v_and_b32_e32 v5, 0x7f, v5
	v_lshl_add_u32 v7, v5, 2, v15
	ds_read_b32 v6, v7
	s_mov_b64 s[52:53], -1
	s_mov_b64 s[50:51], -1
	s_waitcnt lgkmcnt(0)
	v_cmp_ne_u32_e32 vcc, v6, v1
                                        ; implicit-def: $vgpr6
	s_and_saveexec_b64 s[48:49], vcc
	s_cbranch_execz .LBB47_13
; %bb.27:                               ;   in Loop: Header=BB47_20 Depth=2
	ds_cmpst_rtn_b32 v6, v7, v3, v1
	s_mov_b64 s[50:51], 0
	s_waitcnt lgkmcnt(0)
	v_cmp_ne_u32_e32 vcc, -1, v6
                                        ; implicit-def: $vgpr6
	s_and_saveexec_b64 s[54:55], vcc
	s_cbranch_execz .LBB47_12
; %bb.28:                               ;   in Loop: Header=BB47_20 Depth=2
	v_add_u32_e32 v4, -4, v4
	v_cmp_eq_u32_e32 vcc, 0, v4
	s_mov_b64 s[50:51], exec
	v_add_u32_e32 v6, 1, v5
	s_orn2_b64 s[52:53], vcc, exec
	s_branch .LBB47_12
.LBB47_29:                              ;   in Loop: Header=BB47_11 Depth=1
	s_or_b64 exec, exec, s[26:27]
	s_xor_b64 s[18:19], s[18:19], -1
	s_and_saveexec_b64 s[26:27], s[18:19]
	s_xor_b64 s[18:19], exec, s[26:27]
	s_cbranch_execz .LBB47_10
; %bb.30:                               ;   in Loop: Header=BB47_11 Depth=1
	v_lshl_add_u32 v1, v5, 2, v24
	ds_write_b32 v1, v0
	s_branch .LBB47_10
.LBB47_31:
	s_or_b64 exec, exec, s[2:3]
	s_waitcnt vmcnt(0)
	v_cmp_lt_i32_e32 vcc, v16, v14
	s_waitcnt lgkmcnt(0)
	s_and_saveexec_b64 s[4:5], vcc
	s_cbranch_execz .LBB47_61
; %bb.32:
	v_add_u32_e32 v25, 1, v22
	s_mov_b64 s[18:19], 0
	s_movk_i32 s33, 0x67
	s_branch .LBB47_35
.LBB47_33:                              ;   in Loop: Header=BB47_35 Depth=1
	s_or_b64 exec, exec, s[26:27]
	v_add_u32_e32 v16, 1, v16
	v_cmp_ge_i32_e32 vcc, v16, v14
	s_orn2_b64 s[26:27], vcc, exec
.LBB47_34:                              ;   in Loop: Header=BB47_35 Depth=1
	s_or_b64 exec, exec, s[2:3]
	s_and_b64 s[2:3], exec, s[26:27]
	s_or_b64 s[18:19], s[2:3], s[18:19]
	s_andn2_b64 exec, exec, s[18:19]
	s_cbranch_execz .LBB47_61
.LBB47_35:                              ; =>This Loop Header: Depth=1
                                        ;     Child Loop BB47_36 Depth 2
                                        ;     Child Loop BB47_41 Depth 2
                                        ;       Child Loop BB47_50 Depth 3
	v_ashrrev_i32_e32 v17, 31, v16
	v_lshl_add_u64 v[0:1], v[16:17], 2, s[10:11]
	global_load_dword v0, v[0:1], off
	v_lshl_add_u64 v[18:19], v[16:17], 4, s[12:13]
	global_load_dwordx4 v[2:5], v[18:19], off
	s_mov_b64 s[2:3], 0
	s_waitcnt vmcnt(1)
	v_subrev_u32_e32 v0, s34, v0
	v_ashrrev_i32_e32 v1, 31, v0
	v_lshlrev_b64 v[0:1], 2, v[0:1]
	v_lshl_add_u64 v[8:9], s[8:9], 0, v[0:1]
	v_lshl_add_u64 v[20:21], s[14:15], 0, v[0:1]
	global_load_dword v7, v[8:9], off offset:4
	global_load_dword v6, v[20:21], off
	v_lshl_add_u64 v[0:1], s[16:17], 0, v[0:1]
.LBB47_36:                              ;   Parent Loop BB47_35 Depth=1
                                        ; =>  This Inner Loop Header: Depth=2
	global_load_dword v8, v[0:1], off sc1
	s_waitcnt vmcnt(0)
	v_cmp_ne_u32_e32 vcc, 0, v8
	s_or_b64 s[2:3], vcc, s[2:3]
	s_andn2_b64 exec, exec, s[2:3]
	s_cbranch_execnz .LBB47_36
; %bb.37:                               ;   in Loop: Header=BB47_35 Depth=1
	s_or_b64 exec, exec, s[2:3]
	v_subrev_u32_e32 v17, s34, v7
	v_add_u32_e32 v0, -1, v17
	v_cmp_eq_u32_e32 vcc, -1, v6
	buffer_inv sc1
	s_mov_b64 s[26:27], -1
	v_cndmask_b32_e32 v20, v6, v0, vcc
	v_ashrrev_i32_e32 v21, 31, v20
	v_lshl_add_u64 v[0:1], v[20:21], 4, s[12:13]
	global_load_dwordx4 v[6:9], v[0:1], off
	s_waitcnt vmcnt(0)
	v_cmp_neq_f64_e32 vcc, 0, v[6:7]
	v_cmp_neq_f64_e64 s[2:3], 0, v[8:9]
	s_or_b64 s[28:29], vcc, s[2:3]
	s_and_saveexec_b64 s[2:3], s[28:29]
	s_cbranch_execz .LBB47_34
; %bb.38:                               ;   in Loop: Header=BB47_35 Depth=1
	v_mul_f64 v[0:1], v[8:9], v[8:9]
	v_fmac_f64_e32 v[0:1], v[6:7], v[6:7]
	v_div_scale_f64 v[30:31], s[26:27], v[0:1], v[0:1], 1.0
	v_rcp_f64_e32 v[32:33], v[30:31]
	v_div_scale_f64 v[34:35], vcc, 1.0, v[0:1], 1.0
	v_fma_f64 v[36:37], -v[30:31], v[32:33], 1.0
	v_fmac_f64_e32 v[32:33], v[32:33], v[36:37]
	v_fma_f64 v[36:37], -v[30:31], v[32:33], 1.0
	v_fmac_f64_e32 v[32:33], v[32:33], v[36:37]
	v_mul_f64 v[36:37], v[34:35], v[32:33]
	v_fma_f64 v[30:31], -v[30:31], v[36:37], v[34:35]
	v_div_fmas_f64 v[30:31], v[30:31], v[32:33], v[36:37]
	v_div_fixup_f64 v[30:31], v[30:31], v[0:1], 1.0
	v_mul_f64 v[0:1], v[4:5], v[8:9]
	v_fmac_f64_e32 v[0:1], v[2:3], v[6:7]
	v_mul_f64 v[2:3], v[8:9], -v[2:3]
	v_fmac_f64_e32 v[2:3], v[4:5], v[6:7]
	v_add_u32_e32 v4, v25, v20
	v_mul_f64 v[0:1], v[0:1], v[30:31]
	v_mul_f64 v[2:3], v[2:3], v[30:31]
	v_cmp_lt_i32_e32 vcc, v4, v17
	global_store_dwordx4 v[18:19], v[0:3], off
	s_and_saveexec_b64 s[26:27], vcc
	s_cbranch_execz .LBB47_33
; %bb.39:                               ;   in Loop: Header=BB47_35 Depth=1
	s_mov_b64 s[28:29], 0
	s_branch .LBB47_41
.LBB47_40:                              ;   in Loop: Header=BB47_41 Depth=2
	s_or_b64 exec, exec, s[30:31]
	v_add_u32_e32 v4, 64, v4
	v_cmp_ge_i32_e32 vcc, v4, v17
	s_or_b64 s[28:29], vcc, s[28:29]
	s_andn2_b64 exec, exec, s[28:29]
	s_cbranch_execz .LBB47_33
.LBB47_41:                              ;   Parent Loop BB47_35 Depth=1
                                        ; =>  This Loop Header: Depth=2
                                        ;       Child Loop BB47_50 Depth 3
	v_ashrrev_i32_e32 v5, 31, v4
	v_lshl_add_u64 v[6:7], v[4:5], 2, s[10:11]
	global_load_dword v6, v[6:7], off
	v_mov_b32_e32 v7, 0x80
	s_mov_b64 s[36:37], 0
                                        ; implicit-def: $sgpr30_sgpr31
                                        ; implicit-def: $sgpr38_sgpr39
                                        ; implicit-def: $sgpr40_sgpr41
	s_waitcnt vmcnt(0)
	v_mul_lo_u32 v9, v6, s33
	s_branch .LBB47_50
.LBB47_42:                              ;   in Loop: Header=BB47_50 Depth=3
	s_or_b64 exec, exec, s[60:61]
	s_orn2_b64 s[56:57], s[56:57], exec
	s_orn2_b64 s[58:59], s[58:59], exec
.LBB47_43:                              ;   in Loop: Header=BB47_50 Depth=3
	s_or_b64 exec, exec, s[54:55]
	s_and_b64 s[56:57], s[56:57], exec
	s_orn2_b64 s[54:55], s[58:59], exec
.LBB47_44:                              ;   in Loop: Header=BB47_50 Depth=3
	s_or_b64 exec, exec, s[52:53]
	s_orn2_b64 s[56:57], s[56:57], exec
	s_orn2_b64 s[52:53], s[54:55], exec
.LBB47_45:                              ;   in Loop: Header=BB47_50 Depth=3
	s_or_b64 exec, exec, s[50:51]
	s_and_b64 s[54:55], s[56:57], exec
	s_orn2_b64 s[50:51], s[52:53], exec
.LBB47_46:                              ;   in Loop: Header=BB47_50 Depth=3
	s_or_b64 exec, exec, s[48:49]
	s_orn2_b64 s[48:49], s[54:55], exec
	s_orn2_b64 s[50:51], s[50:51], exec
.LBB47_47:                              ;   in Loop: Header=BB47_50 Depth=3
	s_or_b64 exec, exec, s[46:47]
	s_and_b64 s[48:49], s[48:49], exec
	s_orn2_b64 s[46:47], s[50:51], exec
.LBB47_48:                              ;   in Loop: Header=BB47_50 Depth=3
	s_or_b64 exec, exec, s[44:45]
	s_andn2_b64 s[40:41], s[40:41], exec
	s_and_b64 s[44:45], s[48:49], exec
	s_or_b64 s[40:41], s[40:41], s[44:45]
	s_andn2_b64 s[38:39], s[38:39], exec
	s_and_b64 s[44:45], s[46:47], exec
	s_or_b64 s[38:39], s[38:39], s[44:45]
.LBB47_49:                              ;   in Loop: Header=BB47_50 Depth=3
	s_or_b64 exec, exec, s[42:43]
	s_and_b64 s[42:43], exec, s[38:39]
	s_or_b64 s[36:37], s[42:43], s[36:37]
	s_andn2_b64 s[30:31], s[30:31], exec
	s_and_b64 s[42:43], s[40:41], exec
	s_or_b64 s[30:31], s[30:31], s[42:43]
	s_andn2_b64 exec, exec, s[36:37]
	s_cbranch_execz .LBB47_59
.LBB47_50:                              ;   Parent Loop BB47_35 Depth=1
                                        ;     Parent Loop BB47_41 Depth=2
                                        ; =>    This Inner Loop Header: Depth=3
	v_and_b32_e32 v8, 0x7f, v9
	v_lshl_add_u32 v18, v8, 2, v15
	ds_read_b32 v18, v18
	s_or_b64 s[40:41], s[40:41], exec
	s_or_b64 s[38:39], s[38:39], exec
	s_waitcnt lgkmcnt(0)
	v_cmp_ne_u32_e32 vcc, -1, v18
	s_and_saveexec_b64 s[42:43], vcc
	s_cbranch_execz .LBB47_49
; %bb.51:                               ;   in Loop: Header=BB47_50 Depth=3
	v_cmp_ne_u32_e32 vcc, v18, v6
	s_mov_b64 s[46:47], -1
	s_mov_b64 s[48:49], 0
	s_and_saveexec_b64 s[44:45], vcc
	s_cbranch_execz .LBB47_48
; %bb.52:                               ;   in Loop: Header=BB47_50 Depth=3
	v_add_u32_e32 v8, 1, v9
	v_and_b32_e32 v8, 0x7f, v8
	v_lshl_add_u32 v18, v8, 2, v15
	ds_read_b32 v18, v18
	s_mov_b64 s[50:51], -1
	s_mov_b64 s[48:49], -1
	s_waitcnt lgkmcnt(0)
	v_cmp_ne_u32_e32 vcc, -1, v18
	s_and_saveexec_b64 s[46:47], vcc
	s_cbranch_execz .LBB47_47
; %bb.53:                               ;   in Loop: Header=BB47_50 Depth=3
	v_cmp_ne_u32_e32 vcc, v18, v6
	s_mov_b64 s[54:55], 0
	s_and_saveexec_b64 s[48:49], vcc
	s_cbranch_execz .LBB47_46
; %bb.54:                               ;   in Loop: Header=BB47_50 Depth=3
	v_add_u32_e32 v8, 2, v9
	v_and_b32_e32 v8, 0x7f, v8
	v_lshl_add_u32 v18, v8, 2, v15
	ds_read_b32 v18, v18
	s_mov_b64 s[52:53], -1
	s_mov_b64 s[56:57], -1
	s_waitcnt lgkmcnt(0)
	v_cmp_ne_u32_e32 vcc, -1, v18
	s_and_saveexec_b64 s[50:51], vcc
	s_cbranch_execz .LBB47_45
; %bb.55:                               ;   in Loop: Header=BB47_50 Depth=3
	v_cmp_ne_u32_e32 vcc, v18, v6
	s_mov_b64 s[54:55], -1
	s_mov_b64 s[56:57], 0
	s_and_saveexec_b64 s[52:53], vcc
	s_cbranch_execz .LBB47_44
; %bb.56:                               ;   in Loop: Header=BB47_50 Depth=3
	v_add_u32_e32 v8, 3, v9
	v_and_b32_e32 v8, 0x7f, v8
	v_lshl_add_u32 v9, v8, 2, v15
	ds_read_b32 v18, v9
	s_mov_b64 s[58:59], -1
	s_mov_b64 s[56:57], -1
                                        ; implicit-def: $vgpr9
	s_waitcnt lgkmcnt(0)
	v_cmp_ne_u32_e32 vcc, -1, v18
	s_and_saveexec_b64 s[54:55], vcc
	s_cbranch_execz .LBB47_43
; %bb.57:                               ;   in Loop: Header=BB47_50 Depth=3
	v_cmp_ne_u32_e32 vcc, v18, v6
	s_mov_b64 s[56:57], 0
                                        ; implicit-def: $vgpr9
	s_and_saveexec_b64 s[60:61], vcc
	s_cbranch_execz .LBB47_42
; %bb.58:                               ;   in Loop: Header=BB47_50 Depth=3
	v_add_u32_e32 v7, -4, v7
	v_cmp_eq_u32_e32 vcc, 0, v7
	s_mov_b64 s[56:57], exec
	v_add_u32_e32 v9, 1, v8
	s_orn2_b64 s[58:59], vcc, exec
	s_branch .LBB47_42
.LBB47_59:                              ;   in Loop: Header=BB47_41 Depth=2
	s_or_b64 exec, exec, s[36:37]
	s_xor_b64 s[30:31], s[30:31], -1
	s_and_saveexec_b64 s[36:37], s[30:31]
	s_xor_b64 s[30:31], exec, s[36:37]
	s_cbranch_execz .LBB47_40
; %bb.60:                               ;   in Loop: Header=BB47_41 Depth=2
	v_lshl_add_u32 v6, v8, 2, v24
	ds_read_b32 v6, v6
	v_lshl_add_u64 v[30:31], v[4:5], 4, s[12:13]
	s_waitcnt lgkmcnt(0)
	v_ashrrev_i32_e32 v7, 31, v6
	v_lshl_add_u64 v[32:33], v[6:7], 4, s[12:13]
	global_load_dwordx4 v[6:9], v[30:31], off
	global_load_dwordx4 v[18:21], v[32:33], off
	s_waitcnt vmcnt(0)
	v_fma_f64 v[18:19], -v[0:1], v[6:7], v[18:19]
	v_fma_f64 v[6:7], -v[2:3], v[6:7], v[20:21]
	v_fmac_f64_e32 v[18:19], v[2:3], v[8:9]
	v_fma_f64 v[20:21], -v[0:1], v[8:9], v[6:7]
	global_store_dwordx4 v[32:33], v[18:21], off
	s_branch .LBB47_40
.LBB47_61:
	s_or_b64 exec, exec, s[4:5]
	v_cmp_lt_i32_e32 vcc, -1, v14
	s_and_saveexec_b64 s[2:3], vcc
	s_cbranch_execz .LBB47_83
; %bb.62:
	v_mov_b32_e32 v15, 0
	v_lshl_add_u64 v[4:5], v[14:15], 4, s[12:13]
	global_load_dwordx4 v[0:3], v[4:5], off
                                        ; implicit-def: $vgpr14_vgpr15
	s_waitcnt vmcnt(0)
	v_xor_b32_e32 v7, 0x80000000, v1
	v_cmp_gt_f64_e32 vcc, 0, v[0:1]
	v_xor_b32_e32 v8, 0x80000000, v3
	v_mov_b32_e32 v6, v0
	v_cndmask_b32_e32 v7, v1, v7, vcc
	v_cmp_gt_f64_e32 vcc, 0, v[2:3]
	s_nop 1
	v_cndmask_b32_e32 v9, v3, v8, vcc
	v_mov_b32_e32 v8, v2
	v_cmp_ngt_f64_e32 vcc, v[6:7], v[8:9]
	s_and_saveexec_b64 s[4:5], vcc
	s_xor_b64 s[4:5], exec, s[4:5]
	s_cbranch_execz .LBB47_66
; %bb.63:
	v_mov_b64_e32 v[14:15], 0
	v_cmp_neq_f64_e32 vcc, 0, v[2:3]
	s_and_saveexec_b64 s[8:9], vcc
	s_cbranch_execz .LBB47_65
; %bb.64:
	v_div_scale_f64 v[14:15], s[10:11], v[8:9], v[8:9], v[6:7]
	v_rcp_f64_e32 v[16:17], v[14:15]
	v_div_scale_f64 v[18:19], vcc, v[6:7], v[8:9], v[6:7]
	s_mov_b32 s10, 0
	v_fma_f64 v[20:21], -v[14:15], v[16:17], 1.0
	v_fmac_f64_e32 v[16:17], v[16:17], v[20:21]
	v_fma_f64 v[20:21], -v[14:15], v[16:17], 1.0
	v_fmac_f64_e32 v[16:17], v[16:17], v[20:21]
	v_mul_f64 v[20:21], v[18:19], v[16:17]
	v_fma_f64 v[14:15], -v[14:15], v[20:21], v[18:19]
	v_div_fmas_f64 v[14:15], v[14:15], v[16:17], v[20:21]
	v_div_fixup_f64 v[6:7], v[14:15], v[8:9], v[6:7]
	v_fma_f64 v[6:7], v[6:7], v[6:7], 1.0
	s_brev_b32 s11, 8
	v_mov_b32_e32 v14, 0x100
	v_cmp_gt_f64_e32 vcc, s[10:11], v[6:7]
	s_nop 1
	v_cndmask_b32_e32 v14, 0, v14, vcc
	v_ldexp_f64 v[6:7], v[6:7], v14
	v_rsq_f64_e32 v[14:15], v[6:7]
	s_nop 0
	v_mul_f64 v[16:17], v[6:7], v[14:15]
	v_mul_f64 v[14:15], v[14:15], 0.5
	v_fma_f64 v[18:19], -v[14:15], v[16:17], 0.5
	v_fmac_f64_e32 v[16:17], v[16:17], v[18:19]
	v_fma_f64 v[20:21], -v[16:17], v[16:17], v[6:7]
	v_fmac_f64_e32 v[14:15], v[14:15], v[18:19]
	v_fmac_f64_e32 v[16:17], v[20:21], v[14:15]
	v_fma_f64 v[18:19], -v[16:17], v[16:17], v[6:7]
	v_fmac_f64_e32 v[16:17], v[18:19], v[14:15]
	v_mov_b32_e32 v14, 0xffffff80
	v_cndmask_b32_e32 v14, 0, v14, vcc
	v_ldexp_f64 v[14:15], v[16:17], v14
	v_mov_b32_e32 v16, 0x260
	v_cmp_class_f64_e32 vcc, v[6:7], v16
	s_nop 1
	v_cndmask_b32_e32 v7, v15, v7, vcc
	v_cndmask_b32_e32 v6, v14, v6, vcc
	v_mul_f64 v[14:15], v[8:9], v[6:7]
.LBB47_65:
	s_or_b64 exec, exec, s[8:9]
                                        ; implicit-def: $vgpr6_vgpr7
                                        ; implicit-def: $vgpr8_vgpr9
.LBB47_66:
	s_andn2_saveexec_b64 s[4:5], s[4:5]
	s_cbranch_execz .LBB47_68
; %bb.67:
	v_div_scale_f64 v[14:15], s[8:9], v[6:7], v[6:7], v[8:9]
	v_rcp_f64_e32 v[16:17], v[14:15]
	v_div_scale_f64 v[18:19], vcc, v[8:9], v[6:7], v[8:9]
	s_mov_b32 s8, 0
	v_fma_f64 v[20:21], -v[14:15], v[16:17], 1.0
	v_fmac_f64_e32 v[16:17], v[16:17], v[20:21]
	v_fma_f64 v[20:21], -v[14:15], v[16:17], 1.0
	v_fmac_f64_e32 v[16:17], v[16:17], v[20:21]
	v_mul_f64 v[20:21], v[18:19], v[16:17]
	v_fma_f64 v[14:15], -v[14:15], v[20:21], v[18:19]
	v_div_fmas_f64 v[14:15], v[14:15], v[16:17], v[20:21]
	v_div_fixup_f64 v[8:9], v[14:15], v[6:7], v[8:9]
	v_fma_f64 v[8:9], v[8:9], v[8:9], 1.0
	s_brev_b32 s9, 8
	v_mov_b32_e32 v14, 0x100
	v_cmp_gt_f64_e32 vcc, s[8:9], v[8:9]
	s_nop 1
	v_cndmask_b32_e32 v14, 0, v14, vcc
	v_ldexp_f64 v[8:9], v[8:9], v14
	v_rsq_f64_e32 v[14:15], v[8:9]
	s_nop 0
	v_mul_f64 v[16:17], v[8:9], v[14:15]
	v_mul_f64 v[14:15], v[14:15], 0.5
	v_fma_f64 v[18:19], -v[14:15], v[16:17], 0.5
	v_fmac_f64_e32 v[16:17], v[16:17], v[18:19]
	v_fma_f64 v[20:21], -v[16:17], v[16:17], v[8:9]
	v_fmac_f64_e32 v[14:15], v[14:15], v[18:19]
	v_fmac_f64_e32 v[16:17], v[20:21], v[14:15]
	v_fma_f64 v[18:19], -v[16:17], v[16:17], v[8:9]
	v_fmac_f64_e32 v[16:17], v[18:19], v[14:15]
	v_mov_b32_e32 v14, 0xffffff80
	v_cndmask_b32_e32 v14, 0, v14, vcc
	v_ldexp_f64 v[14:15], v[16:17], v14
	v_mov_b32_e32 v16, 0x260
	v_cmp_class_f64_e32 vcc, v[8:9], v16
	s_nop 1
	v_cndmask_b32_e32 v9, v15, v9, vcc
	v_cndmask_b32_e32 v8, v14, v8, vcc
	v_mul_f64 v[14:15], v[6:7], v[8:9]
.LBB47_68:
	s_or_b64 exec, exec, s[4:5]
	v_cmp_eq_u32_e64 s[4:5], 0, v22
	s_and_b64 vcc, exec, s[6:7]
	s_mov_b64 s[6:7], -1
	s_cbranch_vccnz .LBB47_72
; %bb.69:
	s_cmp_eq_u64 s[24:25], 8
	v_cvt_f64_f32_e32 v[6:7], v23
	s_cselect_b64 vcc, -1, 0
	v_cndmask_b32_e32 v7, v7, v13, vcc
	v_cndmask_b32_e32 v6, v6, v12, vcc
	v_cmp_le_f64_e32 vcc, v[14:15], v[6:7]
	s_and_b64 s[8:9], s[4:5], vcc
	s_and_saveexec_b64 s[6:7], s[8:9]
	s_cbranch_execz .LBB47_71
; %bb.70:
	global_store_dwordx4 v[4:5], v[26:29], off
	buffer_wbl2 sc1
	s_waitcnt vmcnt(0)
	buffer_inv sc1
.LBB47_71:
	s_or_b64 exec, exec, s[6:7]
	s_mov_b64 s[6:7], 0
.LBB47_72:
	s_andn2_b64 vcc, exec, s[6:7]
	s_cbranch_vccnz .LBB47_83
; %bb.73:
	s_load_dwordx2 s[0:1], s[0:1], 0x48
	v_add_u32_e32 v4, s34, v10
	s_waitcnt lgkmcnt(0)
	v_cmp_ge_f64_e32 vcc, s[0:1], v[14:15]
	s_and_b64 s[6:7], s[4:5], vcc
	s_and_saveexec_b64 s[0:1], s[6:7]
	s_cbranch_execz .LBB47_78
; %bb.74:
	s_mov_b64 s[6:7], exec
	s_brev_b32 s8, -2
.LBB47_75:                              ; =>This Inner Loop Header: Depth=1
	s_ff1_i32_b64 s9, s[6:7]
	v_readlane_b32 s12, v4, s9
	s_lshl_b64 s[10:11], 1, s9
	s_min_i32 s8, s8, s12
	s_andn2_b64 s[6:7], s[6:7], s[10:11]
	s_cmp_lg_u64 s[6:7], 0
	s_cbranch_scc1 .LBB47_75
; %bb.76:
	v_mbcnt_lo_u32_b32 v5, exec_lo, 0
	v_mbcnt_hi_u32_b32 v5, exec_hi, v5
	v_cmp_eq_u32_e32 vcc, 0, v5
	s_and_saveexec_b64 s[6:7], vcc
	s_xor_b64 s[6:7], exec, s[6:7]
	s_cbranch_execz .LBB47_78
; %bb.77:
	v_mov_b32_e32 v5, 0
	v_mov_b32_e32 v6, s8
	global_atomic_smin v5, v6, s[22:23]
.LBB47_78:
	s_or_b64 exec, exec, s[0:1]
	v_cmp_eq_f64_e32 vcc, 0, v[0:1]
	v_cmp_eq_f64_e64 s[0:1], 0, v[2:3]
	s_and_b64 s[0:1], vcc, s[0:1]
	s_and_b64 s[0:1], s[4:5], s[0:1]
	s_and_b64 exec, exec, s[0:1]
	s_cbranch_execz .LBB47_83
; %bb.79:
	s_mov_b64 s[0:1], exec
	s_brev_b32 s4, -2
.LBB47_80:                              ; =>This Inner Loop Header: Depth=1
	s_ff1_i32_b64 s5, s[0:1]
	v_readlane_b32 s8, v4, s5
	s_lshl_b64 s[6:7], 1, s5
	s_min_i32 s4, s4, s8
	s_andn2_b64 s[0:1], s[0:1], s[6:7]
	s_cmp_lg_u64 s[0:1], 0
	s_cbranch_scc1 .LBB47_80
; %bb.81:
	v_mbcnt_lo_u32_b32 v0, exec_lo, 0
	v_mbcnt_hi_u32_b32 v0, exec_hi, v0
	v_cmp_eq_u32_e32 vcc, 0, v0
	s_and_saveexec_b64 s[0:1], vcc
	s_xor_b64 s[0:1], exec, s[0:1]
	s_cbranch_execz .LBB47_83
; %bb.82:
	v_mov_b32_e32 v0, 0
	v_mov_b32_e32 v1, s4
	global_atomic_smin v0, v1, s[20:21]
.LBB47_83:
	s_or_b64 exec, exec, s[2:3]
	v_cmp_eq_u32_e32 vcc, 0, v22
	buffer_wbl2 sc1
	s_waitcnt vmcnt(0)
	buffer_inv sc1
	s_and_b64 exec, exec, vcc
	s_cbranch_execz .LBB47_85
; %bb.84:
	v_lshl_add_u64 v[0:1], v[10:11], 2, s[16:17]
	v_mov_b32_e32 v2, 1
	buffer_wbl2 sc1
	global_store_dword v[0:1], v2, off sc1
.LBB47_85:
	s_endpgm
	.section	.rodata,"a",@progbits
	.p2align	6, 0x0
	.amdhsa_kernel _ZN9rocsparseL12csrilu0_hashILj256ELj64ELj2E21rocsparse_complex_numIdEEEviPKiS4_PT2_S4_PiS4_S7_S7_d21rocsparse_index_base_imNS_24const_host_device_scalarIfEENS9_IdEENS9_IS5_EEb
		.amdhsa_group_segment_fixed_size 4096
		.amdhsa_private_segment_fixed_size 16
		.amdhsa_kernarg_size 132
		.amdhsa_user_sgpr_count 2
		.amdhsa_user_sgpr_dispatch_ptr 0
		.amdhsa_user_sgpr_queue_ptr 0
		.amdhsa_user_sgpr_kernarg_segment_ptr 1
		.amdhsa_user_sgpr_dispatch_id 0
		.amdhsa_user_sgpr_kernarg_preload_length 0
		.amdhsa_user_sgpr_kernarg_preload_offset 0
		.amdhsa_user_sgpr_private_segment_size 0
		.amdhsa_uses_dynamic_stack 0
		.amdhsa_enable_private_segment 1
		.amdhsa_system_sgpr_workgroup_id_x 1
		.amdhsa_system_sgpr_workgroup_id_y 0
		.amdhsa_system_sgpr_workgroup_id_z 0
		.amdhsa_system_sgpr_workgroup_info 0
		.amdhsa_system_vgpr_workitem_id 0
		.amdhsa_next_free_vgpr 38
		.amdhsa_next_free_sgpr 62
		.amdhsa_accum_offset 40
		.amdhsa_reserve_vcc 1
		.amdhsa_float_round_mode_32 0
		.amdhsa_float_round_mode_16_64 0
		.amdhsa_float_denorm_mode_32 3
		.amdhsa_float_denorm_mode_16_64 3
		.amdhsa_dx10_clamp 1
		.amdhsa_ieee_mode 1
		.amdhsa_fp16_overflow 0
		.amdhsa_tg_split 0
		.amdhsa_exception_fp_ieee_invalid_op 0
		.amdhsa_exception_fp_denorm_src 0
		.amdhsa_exception_fp_ieee_div_zero 0
		.amdhsa_exception_fp_ieee_overflow 0
		.amdhsa_exception_fp_ieee_underflow 0
		.amdhsa_exception_fp_ieee_inexact 0
		.amdhsa_exception_int_div_zero 0
	.end_amdhsa_kernel
	.section	.text._ZN9rocsparseL12csrilu0_hashILj256ELj64ELj2E21rocsparse_complex_numIdEEEviPKiS4_PT2_S4_PiS4_S7_S7_d21rocsparse_index_base_imNS_24const_host_device_scalarIfEENS9_IdEENS9_IS5_EEb,"axG",@progbits,_ZN9rocsparseL12csrilu0_hashILj256ELj64ELj2E21rocsparse_complex_numIdEEEviPKiS4_PT2_S4_PiS4_S7_S7_d21rocsparse_index_base_imNS_24const_host_device_scalarIfEENS9_IdEENS9_IS5_EEb,comdat
.Lfunc_end47:
	.size	_ZN9rocsparseL12csrilu0_hashILj256ELj64ELj2E21rocsparse_complex_numIdEEEviPKiS4_PT2_S4_PiS4_S7_S7_d21rocsparse_index_base_imNS_24const_host_device_scalarIfEENS9_IdEENS9_IS5_EEb, .Lfunc_end47-_ZN9rocsparseL12csrilu0_hashILj256ELj64ELj2E21rocsparse_complex_numIdEEEviPKiS4_PT2_S4_PiS4_S7_S7_d21rocsparse_index_base_imNS_24const_host_device_scalarIfEENS9_IdEENS9_IS5_EEb
                                        ; -- End function
	.set _ZN9rocsparseL12csrilu0_hashILj256ELj64ELj2E21rocsparse_complex_numIdEEEviPKiS4_PT2_S4_PiS4_S7_S7_d21rocsparse_index_base_imNS_24const_host_device_scalarIfEENS9_IdEENS9_IS5_EEb.num_vgpr, 38
	.set _ZN9rocsparseL12csrilu0_hashILj256ELj64ELj2E21rocsparse_complex_numIdEEEviPKiS4_PT2_S4_PiS4_S7_S7_d21rocsparse_index_base_imNS_24const_host_device_scalarIfEENS9_IdEENS9_IS5_EEb.num_agpr, 0
	.set _ZN9rocsparseL12csrilu0_hashILj256ELj64ELj2E21rocsparse_complex_numIdEEEviPKiS4_PT2_S4_PiS4_S7_S7_d21rocsparse_index_base_imNS_24const_host_device_scalarIfEENS9_IdEENS9_IS5_EEb.numbered_sgpr, 62
	.set _ZN9rocsparseL12csrilu0_hashILj256ELj64ELj2E21rocsparse_complex_numIdEEEviPKiS4_PT2_S4_PiS4_S7_S7_d21rocsparse_index_base_imNS_24const_host_device_scalarIfEENS9_IdEENS9_IS5_EEb.num_named_barrier, 0
	.set _ZN9rocsparseL12csrilu0_hashILj256ELj64ELj2E21rocsparse_complex_numIdEEEviPKiS4_PT2_S4_PiS4_S7_S7_d21rocsparse_index_base_imNS_24const_host_device_scalarIfEENS9_IdEENS9_IS5_EEb.private_seg_size, 16
	.set _ZN9rocsparseL12csrilu0_hashILj256ELj64ELj2E21rocsparse_complex_numIdEEEviPKiS4_PT2_S4_PiS4_S7_S7_d21rocsparse_index_base_imNS_24const_host_device_scalarIfEENS9_IdEENS9_IS5_EEb.uses_vcc, 1
	.set _ZN9rocsparseL12csrilu0_hashILj256ELj64ELj2E21rocsparse_complex_numIdEEEviPKiS4_PT2_S4_PiS4_S7_S7_d21rocsparse_index_base_imNS_24const_host_device_scalarIfEENS9_IdEENS9_IS5_EEb.uses_flat_scratch, 0
	.set _ZN9rocsparseL12csrilu0_hashILj256ELj64ELj2E21rocsparse_complex_numIdEEEviPKiS4_PT2_S4_PiS4_S7_S7_d21rocsparse_index_base_imNS_24const_host_device_scalarIfEENS9_IdEENS9_IS5_EEb.has_dyn_sized_stack, 0
	.set _ZN9rocsparseL12csrilu0_hashILj256ELj64ELj2E21rocsparse_complex_numIdEEEviPKiS4_PT2_S4_PiS4_S7_S7_d21rocsparse_index_base_imNS_24const_host_device_scalarIfEENS9_IdEENS9_IS5_EEb.has_recursion, 0
	.set _ZN9rocsparseL12csrilu0_hashILj256ELj64ELj2E21rocsparse_complex_numIdEEEviPKiS4_PT2_S4_PiS4_S7_S7_d21rocsparse_index_base_imNS_24const_host_device_scalarIfEENS9_IdEENS9_IS5_EEb.has_indirect_call, 0
	.section	.AMDGPU.csdata,"",@progbits
; Kernel info:
; codeLenInByte = 3156
; TotalNumSgprs: 68
; NumVgprs: 38
; NumAgprs: 0
; TotalNumVgprs: 38
; ScratchSize: 16
; MemoryBound: 0
; FloatMode: 240
; IeeeMode: 1
; LDSByteSize: 4096 bytes/workgroup (compile time only)
; SGPRBlocks: 8
; VGPRBlocks: 4
; NumSGPRsForWavesPerEU: 68
; NumVGPRsForWavesPerEU: 38
; AccumOffset: 40
; Occupancy: 8
; WaveLimiterHint : 1
; COMPUTE_PGM_RSRC2:SCRATCH_EN: 1
; COMPUTE_PGM_RSRC2:USER_SGPR: 2
; COMPUTE_PGM_RSRC2:TRAP_HANDLER: 0
; COMPUTE_PGM_RSRC2:TGID_X_EN: 1
; COMPUTE_PGM_RSRC2:TGID_Y_EN: 0
; COMPUTE_PGM_RSRC2:TGID_Z_EN: 0
; COMPUTE_PGM_RSRC2:TIDIG_COMP_CNT: 0
; COMPUTE_PGM_RSRC3_GFX90A:ACCUM_OFFSET: 9
; COMPUTE_PGM_RSRC3_GFX90A:TG_SPLIT: 0
	.section	.text._ZN9rocsparseL12csrilu0_hashILj256ELj64ELj4E21rocsparse_complex_numIdEEEviPKiS4_PT2_S4_PiS4_S7_S7_d21rocsparse_index_base_imNS_24const_host_device_scalarIfEENS9_IdEENS9_IS5_EEb,"axG",@progbits,_ZN9rocsparseL12csrilu0_hashILj256ELj64ELj4E21rocsparse_complex_numIdEEEviPKiS4_PT2_S4_PiS4_S7_S7_d21rocsparse_index_base_imNS_24const_host_device_scalarIfEENS9_IdEENS9_IS5_EEb,comdat
	.globl	_ZN9rocsparseL12csrilu0_hashILj256ELj64ELj4E21rocsparse_complex_numIdEEEviPKiS4_PT2_S4_PiS4_S7_S7_d21rocsparse_index_base_imNS_24const_host_device_scalarIfEENS9_IdEENS9_IS5_EEb ; -- Begin function _ZN9rocsparseL12csrilu0_hashILj256ELj64ELj4E21rocsparse_complex_numIdEEEviPKiS4_PT2_S4_PiS4_S7_S7_d21rocsparse_index_base_imNS_24const_host_device_scalarIfEENS9_IdEENS9_IS5_EEb
	.p2align	8
	.type	_ZN9rocsparseL12csrilu0_hashILj256ELj64ELj4E21rocsparse_complex_numIdEEEviPKiS4_PT2_S4_PiS4_S7_S7_d21rocsparse_index_base_imNS_24const_host_device_scalarIfEENS9_IdEENS9_IS5_EEb,@function
_ZN9rocsparseL12csrilu0_hashILj256ELj64ELj4E21rocsparse_complex_numIdEEEviPKiS4_PT2_S4_PiS4_S7_S7_d21rocsparse_index_base_imNS_24const_host_device_scalarIfEENS9_IdEENS9_IS5_EEb: ; @_ZN9rocsparseL12csrilu0_hashILj256ELj64ELj4E21rocsparse_complex_numIdEEEviPKiS4_PT2_S4_PiS4_S7_S7_d21rocsparse_index_base_imNS_24const_host_device_scalarIfEENS9_IdEENS9_IS5_EEb
; %bb.0:
	s_load_dword s3, s[0:1], 0x80
	s_load_dwordx8 s[24:31], s[0:1], 0x58
	s_load_dwordx2 s[4:5], s[0:1], 0x78
	s_load_dwordx2 s[34:35], s[0:1], 0x50
	s_waitcnt lgkmcnt(0)
	s_bitcmp1_b32 s3, 0
	s_cselect_b64 s[8:9], -1, 0
	v_mov_b64_e32 v[2:3], s[30:31]
	s_cmp_eq_u32 s35, 0
	s_cselect_b64 s[14:15], -1, 0
	s_cmp_lg_u32 s35, 0
	s_cselect_b64 s[10:11], -1, 0
	s_or_b64 s[16:17], s[14:15], s[8:9]
	s_xor_b64 s[6:7], s[16:17], -1
	s_and_b64 s[12:13], s[14:15], exec
	s_cselect_b32 s13, 0, s29
	s_cselect_b32 s12, 0, s28
	s_and_b64 vcc, exec, s[16:17]
	scratch_store_dwordx2 off, v[2:3], off
	s_cbranch_vccnz .LBB48_2
; %bb.1:
	s_load_dword s3, s[26:27], 0x0
	s_mov_b64 s[12:13], s[28:29]
	s_waitcnt lgkmcnt(0)
	v_mov_b32_e32 v23, s3
	s_andn2_b64 vcc, exec, s[6:7]
	v_mov_b64_e32 v[12:13], s[12:13]
	s_cbranch_vccz .LBB48_3
	s_branch .LBB48_4
.LBB48_2:
	v_mov_b32_e32 v1, s26
	v_cndmask_b32_e64 v23, v1, 0, s[14:15]
	s_andn2_b64 vcc, exec, s[6:7]
	v_mov_b64_e32 v[12:13], s[12:13]
	s_cbranch_vccnz .LBB48_4
.LBB48_3:
	v_mov_b64_e32 v[2:3], s[28:29]
	flat_load_dwordx2 v[12:13], v[2:3]
.LBB48_4:
	v_cndmask_b32_e64 v1, 0, 1, s[10:11]
	v_mov_b64_e32 v[28:29], 0
	v_cmp_ne_u32_e64 s[6:7], 1, v1
	s_andn2_b64 vcc, exec, s[10:11]
	v_mov_b64_e32 v[26:27], 0
	s_cbranch_vccnz .LBB48_7
; %bb.5:
	s_xor_b64 s[12:13], s[8:9], -1
	s_mov_b64 s[10:11], src_private_base
	s_and_b64 s[8:9], s[8:9], exec
	s_cselect_b32 s3, s11, s31
	s_cselect_b32 s8, 0, s30
	v_mov_b32_e32 v2, s8
	v_mov_b32_e32 v3, s3
	flat_load_dwordx2 v[26:27], v[2:3]
	s_andn2_b64 vcc, exec, s[12:13]
	v_mov_b64_e32 v[28:29], s[4:5]
	s_cbranch_vccnz .LBB48_7
; %bb.6:
	v_mov_b64_e32 v[2:3], s[30:31]
	flat_load_dwordx2 v[28:29], v[2:3] offset:8
.LBB48_7:
	s_load_dword s3, s[0:1], 0x0
	v_lshlrev_b32_e32 v1, 2, v0
	s_lshl_b32 s2, s2, 2
	v_and_b32_e32 v22, 63, v0
	v_and_b32_e32 v1, 0x300, v1
	v_mov_b32_e32 v2, 0x1000
	v_lshrrev_b32_e32 v0, 6, v0
	s_and_b32 s2, s2, 0x3fffffc
	v_lshl_or_b32 v15, v1, 2, v2
	v_or_b32_e32 v0, s2, v0
	v_lshl_or_b32 v2, v22, 2, v15
	v_mov_b32_e32 v3, -1
	s_waitcnt lgkmcnt(0)
	v_cmp_gt_i32_e32 vcc, s3, v0
	ds_write2st64_b32 v2, v3, v3 offset1:1
	ds_write2st64_b32 v2, v3, v3 offset0:2 offset1:3
	s_waitcnt lgkmcnt(0)
	s_and_saveexec_b64 s[2:3], vcc
	s_cbranch_execz .LBB48_85
; %bb.8:
	s_load_dwordx16 s[8:23], s[0:1], 0x8
	v_lshlrev_b32_e32 v0, 2, v0
	v_lshlrev_b32_e32 v24, 2, v1
	s_waitcnt lgkmcnt(0)
	global_load_dword v10, v0, s[18:19]
	s_waitcnt vmcnt(0)
	v_ashrrev_i32_e32 v11, 31, v10
	v_lshlrev_b64 v[2:3], 2, v[10:11]
	v_lshl_add_u64 v[4:5], s[8:9], 0, v[2:3]
	global_load_dwordx2 v[4:5], v[4:5], off
	v_lshl_add_u64 v[2:3], s[14:15], 0, v[2:3]
	global_load_dword v14, v[2:3], off
	s_waitcnt vmcnt(1)
	v_subrev_u32_e32 v16, s34, v4
	v_subrev_u32_e32 v2, s34, v5
	v_add_u32_e32 v0, v16, v22
	v_cmp_lt_i32_e32 vcc, v0, v2
	s_and_saveexec_b64 s[2:3], vcc
	s_cbranch_execz .LBB48_31
; %bb.9:
	s_mov_b64 s[4:5], 0
	s_movk_i32 s33, 0x67
	v_mov_b32_e32 v3, -1
	s_branch .LBB48_11
.LBB48_10:                              ;   in Loop: Header=BB48_11 Depth=1
	s_or_b64 exec, exec, s[18:19]
	v_add_u32_e32 v0, 64, v0
	v_cmp_ge_i32_e32 vcc, v0, v2
	s_or_b64 s[4:5], vcc, s[4:5]
	s_andn2_b64 exec, exec, s[4:5]
	s_cbranch_execz .LBB48_31
.LBB48_11:                              ; =>This Loop Header: Depth=1
                                        ;     Child Loop BB48_20 Depth 2
	v_ashrrev_i32_e32 v1, 31, v0
	v_lshl_add_u64 v[4:5], v[0:1], 2, s[10:11]
	global_load_dword v1, v[4:5], off
	v_mov_b32_e32 v4, 0x100
	s_mov_b64 s[26:27], 0
                                        ; implicit-def: $sgpr18_sgpr19
                                        ; implicit-def: $sgpr28_sgpr29
                                        ; implicit-def: $sgpr30_sgpr31
	s_waitcnt vmcnt(0)
	v_mul_lo_u32 v6, v1, s33
	s_branch .LBB48_20
.LBB48_12:                              ;   in Loop: Header=BB48_20 Depth=2
	s_or_b64 exec, exec, s[54:55]
	s_orn2_b64 s[50:51], s[50:51], exec
	s_orn2_b64 s[52:53], s[52:53], exec
.LBB48_13:                              ;   in Loop: Header=BB48_20 Depth=2
	s_or_b64 exec, exec, s[48:49]
	s_and_b64 s[50:51], s[50:51], exec
	s_orn2_b64 s[48:49], s[52:53], exec
.LBB48_14:                              ;   in Loop: Header=BB48_20 Depth=2
	s_or_b64 exec, exec, s[46:47]
	s_orn2_b64 s[50:51], s[50:51], exec
	s_orn2_b64 s[46:47], s[48:49], exec
.LBB48_15:                              ;   in Loop: Header=BB48_20 Depth=2
	s_or_b64 exec, exec, s[44:45]
	s_and_b64 s[48:49], s[50:51], exec
	s_orn2_b64 s[44:45], s[46:47], exec
.LBB48_16:                              ;   in Loop: Header=BB48_20 Depth=2
	s_or_b64 exec, exec, s[42:43]
	s_orn2_b64 s[42:43], s[48:49], exec
	s_orn2_b64 s[44:45], s[44:45], exec
.LBB48_17:                              ;   in Loop: Header=BB48_20 Depth=2
	s_or_b64 exec, exec, s[40:41]
	s_and_b64 s[42:43], s[42:43], exec
	s_orn2_b64 s[40:41], s[44:45], exec
.LBB48_18:                              ;   in Loop: Header=BB48_20 Depth=2
	s_or_b64 exec, exec, s[38:39]
	s_andn2_b64 s[30:31], s[30:31], exec
	s_and_b64 s[38:39], s[42:43], exec
	s_or_b64 s[30:31], s[30:31], s[38:39]
	s_andn2_b64 s[28:29], s[28:29], exec
	s_and_b64 s[38:39], s[40:41], exec
	s_or_b64 s[28:29], s[28:29], s[38:39]
.LBB48_19:                              ;   in Loop: Header=BB48_20 Depth=2
	s_or_b64 exec, exec, s[36:37]
	s_and_b64 s[36:37], exec, s[28:29]
	s_or_b64 s[26:27], s[36:37], s[26:27]
	s_andn2_b64 s[18:19], s[18:19], exec
	s_and_b64 s[36:37], s[30:31], exec
	s_or_b64 s[18:19], s[18:19], s[36:37]
	s_andn2_b64 exec, exec, s[26:27]
	s_cbranch_execz .LBB48_29
.LBB48_20:                              ;   Parent Loop BB48_11 Depth=1
                                        ; =>  This Inner Loop Header: Depth=2
	v_and_b32_e32 v5, 0xff, v6
	v_lshl_add_u32 v7, v5, 2, v15
	ds_read_b32 v8, v7
	s_or_b64 s[30:31], s[30:31], exec
	s_or_b64 s[28:29], s[28:29], exec
	s_waitcnt lgkmcnt(0)
	v_cmp_ne_u32_e32 vcc, v8, v1
	s_and_saveexec_b64 s[36:37], vcc
	s_cbranch_execz .LBB48_19
; %bb.21:                               ;   in Loop: Header=BB48_20 Depth=2
	ds_cmpst_rtn_b32 v7, v7, v3, v1
	s_mov_b64 s[40:41], -1
	s_mov_b64 s[42:43], 0
	s_waitcnt lgkmcnt(0)
	v_cmp_ne_u32_e32 vcc, -1, v7
	s_and_saveexec_b64 s[38:39], vcc
	s_cbranch_execz .LBB48_18
; %bb.22:                               ;   in Loop: Header=BB48_20 Depth=2
	v_add_u32_e32 v5, 1, v6
	v_and_b32_e32 v5, 0xff, v5
	v_lshl_add_u32 v7, v5, 2, v15
	ds_read_b32 v8, v7
	s_mov_b64 s[44:45], -1
	s_mov_b64 s[42:43], -1
	s_waitcnt lgkmcnt(0)
	v_cmp_ne_u32_e32 vcc, v8, v1
	s_and_saveexec_b64 s[40:41], vcc
	s_cbranch_execz .LBB48_17
; %bb.23:                               ;   in Loop: Header=BB48_20 Depth=2
	ds_cmpst_rtn_b32 v7, v7, v3, v1
	s_mov_b64 s[48:49], 0
	s_waitcnt lgkmcnt(0)
	v_cmp_ne_u32_e32 vcc, -1, v7
	s_and_saveexec_b64 s[42:43], vcc
	s_cbranch_execz .LBB48_16
; %bb.24:                               ;   in Loop: Header=BB48_20 Depth=2
	v_add_u32_e32 v5, 2, v6
	v_and_b32_e32 v5, 0xff, v5
	v_lshl_add_u32 v7, v5, 2, v15
	ds_read_b32 v8, v7
	s_mov_b64 s[46:47], -1
	s_mov_b64 s[50:51], -1
	s_waitcnt lgkmcnt(0)
	v_cmp_ne_u32_e32 vcc, v8, v1
	s_and_saveexec_b64 s[44:45], vcc
	s_cbranch_execz .LBB48_15
; %bb.25:                               ;   in Loop: Header=BB48_20 Depth=2
	ds_cmpst_rtn_b32 v7, v7, v3, v1
	s_mov_b64 s[48:49], -1
	s_mov_b64 s[50:51], 0
	s_waitcnt lgkmcnt(0)
	v_cmp_ne_u32_e32 vcc, -1, v7
	s_and_saveexec_b64 s[46:47], vcc
	s_cbranch_execz .LBB48_14
; %bb.26:                               ;   in Loop: Header=BB48_20 Depth=2
	v_add_u32_e32 v5, 3, v6
	v_and_b32_e32 v5, 0xff, v5
	v_lshl_add_u32 v7, v5, 2, v15
	ds_read_b32 v6, v7
	s_mov_b64 s[52:53], -1
	s_mov_b64 s[50:51], -1
	s_waitcnt lgkmcnt(0)
	v_cmp_ne_u32_e32 vcc, v6, v1
                                        ; implicit-def: $vgpr6
	s_and_saveexec_b64 s[48:49], vcc
	s_cbranch_execz .LBB48_13
; %bb.27:                               ;   in Loop: Header=BB48_20 Depth=2
	ds_cmpst_rtn_b32 v6, v7, v3, v1
	s_mov_b64 s[50:51], 0
	s_waitcnt lgkmcnt(0)
	v_cmp_ne_u32_e32 vcc, -1, v6
                                        ; implicit-def: $vgpr6
	s_and_saveexec_b64 s[54:55], vcc
	s_cbranch_execz .LBB48_12
; %bb.28:                               ;   in Loop: Header=BB48_20 Depth=2
	v_add_u32_e32 v4, -4, v4
	v_cmp_eq_u32_e32 vcc, 0, v4
	s_mov_b64 s[50:51], exec
	v_add_u32_e32 v6, 1, v5
	s_orn2_b64 s[52:53], vcc, exec
	s_branch .LBB48_12
.LBB48_29:                              ;   in Loop: Header=BB48_11 Depth=1
	s_or_b64 exec, exec, s[26:27]
	s_xor_b64 s[18:19], s[18:19], -1
	s_and_saveexec_b64 s[26:27], s[18:19]
	s_xor_b64 s[18:19], exec, s[26:27]
	s_cbranch_execz .LBB48_10
; %bb.30:                               ;   in Loop: Header=BB48_11 Depth=1
	v_lshl_add_u32 v1, v5, 2, v24
	ds_write_b32 v1, v0
	s_branch .LBB48_10
.LBB48_31:
	s_or_b64 exec, exec, s[2:3]
	s_waitcnt vmcnt(0)
	v_cmp_lt_i32_e32 vcc, v16, v14
	s_waitcnt lgkmcnt(0)
	s_and_saveexec_b64 s[4:5], vcc
	s_cbranch_execz .LBB48_61
; %bb.32:
	v_add_u32_e32 v25, 1, v22
	s_mov_b64 s[18:19], 0
	s_movk_i32 s33, 0x67
	s_branch .LBB48_35
.LBB48_33:                              ;   in Loop: Header=BB48_35 Depth=1
	s_or_b64 exec, exec, s[26:27]
	v_add_u32_e32 v16, 1, v16
	v_cmp_ge_i32_e32 vcc, v16, v14
	s_orn2_b64 s[26:27], vcc, exec
.LBB48_34:                              ;   in Loop: Header=BB48_35 Depth=1
	s_or_b64 exec, exec, s[2:3]
	s_and_b64 s[2:3], exec, s[26:27]
	s_or_b64 s[18:19], s[2:3], s[18:19]
	s_andn2_b64 exec, exec, s[18:19]
	s_cbranch_execz .LBB48_61
.LBB48_35:                              ; =>This Loop Header: Depth=1
                                        ;     Child Loop BB48_36 Depth 2
                                        ;     Child Loop BB48_41 Depth 2
                                        ;       Child Loop BB48_50 Depth 3
	v_ashrrev_i32_e32 v17, 31, v16
	v_lshl_add_u64 v[0:1], v[16:17], 2, s[10:11]
	global_load_dword v0, v[0:1], off
	v_lshl_add_u64 v[18:19], v[16:17], 4, s[12:13]
	global_load_dwordx4 v[2:5], v[18:19], off
	s_mov_b64 s[2:3], 0
	s_waitcnt vmcnt(1)
	v_subrev_u32_e32 v0, s34, v0
	v_ashrrev_i32_e32 v1, 31, v0
	v_lshlrev_b64 v[0:1], 2, v[0:1]
	v_lshl_add_u64 v[8:9], s[8:9], 0, v[0:1]
	v_lshl_add_u64 v[20:21], s[14:15], 0, v[0:1]
	global_load_dword v7, v[8:9], off offset:4
	global_load_dword v6, v[20:21], off
	v_lshl_add_u64 v[0:1], s[16:17], 0, v[0:1]
.LBB48_36:                              ;   Parent Loop BB48_35 Depth=1
                                        ; =>  This Inner Loop Header: Depth=2
	global_load_dword v8, v[0:1], off sc1
	s_waitcnt vmcnt(0)
	v_cmp_ne_u32_e32 vcc, 0, v8
	s_or_b64 s[2:3], vcc, s[2:3]
	s_andn2_b64 exec, exec, s[2:3]
	s_cbranch_execnz .LBB48_36
; %bb.37:                               ;   in Loop: Header=BB48_35 Depth=1
	s_or_b64 exec, exec, s[2:3]
	v_subrev_u32_e32 v17, s34, v7
	v_add_u32_e32 v0, -1, v17
	v_cmp_eq_u32_e32 vcc, -1, v6
	buffer_inv sc1
	s_mov_b64 s[26:27], -1
	v_cndmask_b32_e32 v20, v6, v0, vcc
	v_ashrrev_i32_e32 v21, 31, v20
	v_lshl_add_u64 v[0:1], v[20:21], 4, s[12:13]
	global_load_dwordx4 v[6:9], v[0:1], off
	s_waitcnt vmcnt(0)
	v_cmp_neq_f64_e32 vcc, 0, v[6:7]
	v_cmp_neq_f64_e64 s[2:3], 0, v[8:9]
	s_or_b64 s[28:29], vcc, s[2:3]
	s_and_saveexec_b64 s[2:3], s[28:29]
	s_cbranch_execz .LBB48_34
; %bb.38:                               ;   in Loop: Header=BB48_35 Depth=1
	v_mul_f64 v[0:1], v[8:9], v[8:9]
	v_fmac_f64_e32 v[0:1], v[6:7], v[6:7]
	v_div_scale_f64 v[30:31], s[26:27], v[0:1], v[0:1], 1.0
	v_rcp_f64_e32 v[32:33], v[30:31]
	v_div_scale_f64 v[34:35], vcc, 1.0, v[0:1], 1.0
	v_fma_f64 v[36:37], -v[30:31], v[32:33], 1.0
	v_fmac_f64_e32 v[32:33], v[32:33], v[36:37]
	v_fma_f64 v[36:37], -v[30:31], v[32:33], 1.0
	v_fmac_f64_e32 v[32:33], v[32:33], v[36:37]
	v_mul_f64 v[36:37], v[34:35], v[32:33]
	v_fma_f64 v[30:31], -v[30:31], v[36:37], v[34:35]
	v_div_fmas_f64 v[30:31], v[30:31], v[32:33], v[36:37]
	v_div_fixup_f64 v[30:31], v[30:31], v[0:1], 1.0
	v_mul_f64 v[0:1], v[4:5], v[8:9]
	v_fmac_f64_e32 v[0:1], v[2:3], v[6:7]
	v_mul_f64 v[2:3], v[8:9], -v[2:3]
	v_fmac_f64_e32 v[2:3], v[4:5], v[6:7]
	v_add_u32_e32 v4, v25, v20
	v_mul_f64 v[0:1], v[0:1], v[30:31]
	v_mul_f64 v[2:3], v[2:3], v[30:31]
	v_cmp_lt_i32_e32 vcc, v4, v17
	global_store_dwordx4 v[18:19], v[0:3], off
	s_and_saveexec_b64 s[26:27], vcc
	s_cbranch_execz .LBB48_33
; %bb.39:                               ;   in Loop: Header=BB48_35 Depth=1
	s_mov_b64 s[28:29], 0
	s_branch .LBB48_41
.LBB48_40:                              ;   in Loop: Header=BB48_41 Depth=2
	s_or_b64 exec, exec, s[30:31]
	v_add_u32_e32 v4, 64, v4
	v_cmp_ge_i32_e32 vcc, v4, v17
	s_or_b64 s[28:29], vcc, s[28:29]
	s_andn2_b64 exec, exec, s[28:29]
	s_cbranch_execz .LBB48_33
.LBB48_41:                              ;   Parent Loop BB48_35 Depth=1
                                        ; =>  This Loop Header: Depth=2
                                        ;       Child Loop BB48_50 Depth 3
	v_ashrrev_i32_e32 v5, 31, v4
	v_lshl_add_u64 v[6:7], v[4:5], 2, s[10:11]
	global_load_dword v6, v[6:7], off
	v_mov_b32_e32 v7, 0x100
	s_mov_b64 s[36:37], 0
                                        ; implicit-def: $sgpr30_sgpr31
                                        ; implicit-def: $sgpr38_sgpr39
                                        ; implicit-def: $sgpr40_sgpr41
	s_waitcnt vmcnt(0)
	v_mul_lo_u32 v9, v6, s33
	s_branch .LBB48_50
.LBB48_42:                              ;   in Loop: Header=BB48_50 Depth=3
	s_or_b64 exec, exec, s[60:61]
	s_orn2_b64 s[56:57], s[56:57], exec
	s_orn2_b64 s[58:59], s[58:59], exec
.LBB48_43:                              ;   in Loop: Header=BB48_50 Depth=3
	s_or_b64 exec, exec, s[54:55]
	s_and_b64 s[56:57], s[56:57], exec
	s_orn2_b64 s[54:55], s[58:59], exec
.LBB48_44:                              ;   in Loop: Header=BB48_50 Depth=3
	s_or_b64 exec, exec, s[52:53]
	s_orn2_b64 s[56:57], s[56:57], exec
	s_orn2_b64 s[52:53], s[54:55], exec
.LBB48_45:                              ;   in Loop: Header=BB48_50 Depth=3
	s_or_b64 exec, exec, s[50:51]
	s_and_b64 s[54:55], s[56:57], exec
	s_orn2_b64 s[50:51], s[52:53], exec
.LBB48_46:                              ;   in Loop: Header=BB48_50 Depth=3
	s_or_b64 exec, exec, s[48:49]
	s_orn2_b64 s[48:49], s[54:55], exec
	s_orn2_b64 s[50:51], s[50:51], exec
.LBB48_47:                              ;   in Loop: Header=BB48_50 Depth=3
	s_or_b64 exec, exec, s[46:47]
	s_and_b64 s[48:49], s[48:49], exec
	s_orn2_b64 s[46:47], s[50:51], exec
.LBB48_48:                              ;   in Loop: Header=BB48_50 Depth=3
	s_or_b64 exec, exec, s[44:45]
	s_andn2_b64 s[40:41], s[40:41], exec
	s_and_b64 s[44:45], s[48:49], exec
	s_or_b64 s[40:41], s[40:41], s[44:45]
	s_andn2_b64 s[38:39], s[38:39], exec
	s_and_b64 s[44:45], s[46:47], exec
	s_or_b64 s[38:39], s[38:39], s[44:45]
.LBB48_49:                              ;   in Loop: Header=BB48_50 Depth=3
	s_or_b64 exec, exec, s[42:43]
	s_and_b64 s[42:43], exec, s[38:39]
	s_or_b64 s[36:37], s[42:43], s[36:37]
	s_andn2_b64 s[30:31], s[30:31], exec
	s_and_b64 s[42:43], s[40:41], exec
	s_or_b64 s[30:31], s[30:31], s[42:43]
	s_andn2_b64 exec, exec, s[36:37]
	s_cbranch_execz .LBB48_59
.LBB48_50:                              ;   Parent Loop BB48_35 Depth=1
                                        ;     Parent Loop BB48_41 Depth=2
                                        ; =>    This Inner Loop Header: Depth=3
	v_and_b32_e32 v8, 0xff, v9
	v_lshl_add_u32 v18, v8, 2, v15
	ds_read_b32 v18, v18
	s_or_b64 s[40:41], s[40:41], exec
	s_or_b64 s[38:39], s[38:39], exec
	s_waitcnt lgkmcnt(0)
	v_cmp_ne_u32_e32 vcc, -1, v18
	s_and_saveexec_b64 s[42:43], vcc
	s_cbranch_execz .LBB48_49
; %bb.51:                               ;   in Loop: Header=BB48_50 Depth=3
	v_cmp_ne_u32_e32 vcc, v18, v6
	s_mov_b64 s[46:47], -1
	s_mov_b64 s[48:49], 0
	s_and_saveexec_b64 s[44:45], vcc
	s_cbranch_execz .LBB48_48
; %bb.52:                               ;   in Loop: Header=BB48_50 Depth=3
	v_add_u32_e32 v8, 1, v9
	v_and_b32_e32 v8, 0xff, v8
	v_lshl_add_u32 v18, v8, 2, v15
	ds_read_b32 v18, v18
	s_mov_b64 s[50:51], -1
	s_mov_b64 s[48:49], -1
	s_waitcnt lgkmcnt(0)
	v_cmp_ne_u32_e32 vcc, -1, v18
	s_and_saveexec_b64 s[46:47], vcc
	s_cbranch_execz .LBB48_47
; %bb.53:                               ;   in Loop: Header=BB48_50 Depth=3
	v_cmp_ne_u32_e32 vcc, v18, v6
	s_mov_b64 s[54:55], 0
	s_and_saveexec_b64 s[48:49], vcc
	s_cbranch_execz .LBB48_46
; %bb.54:                               ;   in Loop: Header=BB48_50 Depth=3
	v_add_u32_e32 v8, 2, v9
	v_and_b32_e32 v8, 0xff, v8
	v_lshl_add_u32 v18, v8, 2, v15
	ds_read_b32 v18, v18
	s_mov_b64 s[52:53], -1
	s_mov_b64 s[56:57], -1
	s_waitcnt lgkmcnt(0)
	v_cmp_ne_u32_e32 vcc, -1, v18
	s_and_saveexec_b64 s[50:51], vcc
	s_cbranch_execz .LBB48_45
; %bb.55:                               ;   in Loop: Header=BB48_50 Depth=3
	v_cmp_ne_u32_e32 vcc, v18, v6
	s_mov_b64 s[54:55], -1
	s_mov_b64 s[56:57], 0
	s_and_saveexec_b64 s[52:53], vcc
	s_cbranch_execz .LBB48_44
; %bb.56:                               ;   in Loop: Header=BB48_50 Depth=3
	v_add_u32_e32 v8, 3, v9
	v_and_b32_e32 v8, 0xff, v8
	v_lshl_add_u32 v9, v8, 2, v15
	ds_read_b32 v18, v9
	s_mov_b64 s[58:59], -1
	s_mov_b64 s[56:57], -1
                                        ; implicit-def: $vgpr9
	s_waitcnt lgkmcnt(0)
	v_cmp_ne_u32_e32 vcc, -1, v18
	s_and_saveexec_b64 s[54:55], vcc
	s_cbranch_execz .LBB48_43
; %bb.57:                               ;   in Loop: Header=BB48_50 Depth=3
	v_cmp_ne_u32_e32 vcc, v18, v6
	s_mov_b64 s[56:57], 0
                                        ; implicit-def: $vgpr9
	s_and_saveexec_b64 s[60:61], vcc
	s_cbranch_execz .LBB48_42
; %bb.58:                               ;   in Loop: Header=BB48_50 Depth=3
	v_add_u32_e32 v7, -4, v7
	v_cmp_eq_u32_e32 vcc, 0, v7
	s_mov_b64 s[56:57], exec
	v_add_u32_e32 v9, 1, v8
	s_orn2_b64 s[58:59], vcc, exec
	s_branch .LBB48_42
.LBB48_59:                              ;   in Loop: Header=BB48_41 Depth=2
	s_or_b64 exec, exec, s[36:37]
	s_xor_b64 s[30:31], s[30:31], -1
	s_and_saveexec_b64 s[36:37], s[30:31]
	s_xor_b64 s[30:31], exec, s[36:37]
	s_cbranch_execz .LBB48_40
; %bb.60:                               ;   in Loop: Header=BB48_41 Depth=2
	v_lshl_add_u32 v6, v8, 2, v24
	ds_read_b32 v6, v6
	v_lshl_add_u64 v[30:31], v[4:5], 4, s[12:13]
	s_waitcnt lgkmcnt(0)
	v_ashrrev_i32_e32 v7, 31, v6
	v_lshl_add_u64 v[32:33], v[6:7], 4, s[12:13]
	global_load_dwordx4 v[6:9], v[30:31], off
	global_load_dwordx4 v[18:21], v[32:33], off
	s_waitcnt vmcnt(0)
	v_fma_f64 v[18:19], -v[0:1], v[6:7], v[18:19]
	v_fma_f64 v[6:7], -v[2:3], v[6:7], v[20:21]
	v_fmac_f64_e32 v[18:19], v[2:3], v[8:9]
	v_fma_f64 v[20:21], -v[0:1], v[8:9], v[6:7]
	global_store_dwordx4 v[32:33], v[18:21], off
	s_branch .LBB48_40
.LBB48_61:
	s_or_b64 exec, exec, s[4:5]
	v_cmp_lt_i32_e32 vcc, -1, v14
	s_and_saveexec_b64 s[2:3], vcc
	s_cbranch_execz .LBB48_83
; %bb.62:
	v_mov_b32_e32 v15, 0
	v_lshl_add_u64 v[4:5], v[14:15], 4, s[12:13]
	global_load_dwordx4 v[0:3], v[4:5], off
                                        ; implicit-def: $vgpr14_vgpr15
	s_waitcnt vmcnt(0)
	v_xor_b32_e32 v7, 0x80000000, v1
	v_cmp_gt_f64_e32 vcc, 0, v[0:1]
	v_xor_b32_e32 v8, 0x80000000, v3
	v_mov_b32_e32 v6, v0
	v_cndmask_b32_e32 v7, v1, v7, vcc
	v_cmp_gt_f64_e32 vcc, 0, v[2:3]
	s_nop 1
	v_cndmask_b32_e32 v9, v3, v8, vcc
	v_mov_b32_e32 v8, v2
	v_cmp_ngt_f64_e32 vcc, v[6:7], v[8:9]
	s_and_saveexec_b64 s[4:5], vcc
	s_xor_b64 s[4:5], exec, s[4:5]
	s_cbranch_execz .LBB48_66
; %bb.63:
	v_mov_b64_e32 v[14:15], 0
	v_cmp_neq_f64_e32 vcc, 0, v[2:3]
	s_and_saveexec_b64 s[8:9], vcc
	s_cbranch_execz .LBB48_65
; %bb.64:
	v_div_scale_f64 v[14:15], s[10:11], v[8:9], v[8:9], v[6:7]
	v_rcp_f64_e32 v[16:17], v[14:15]
	v_div_scale_f64 v[18:19], vcc, v[6:7], v[8:9], v[6:7]
	s_mov_b32 s10, 0
	v_fma_f64 v[20:21], -v[14:15], v[16:17], 1.0
	v_fmac_f64_e32 v[16:17], v[16:17], v[20:21]
	v_fma_f64 v[20:21], -v[14:15], v[16:17], 1.0
	v_fmac_f64_e32 v[16:17], v[16:17], v[20:21]
	v_mul_f64 v[20:21], v[18:19], v[16:17]
	v_fma_f64 v[14:15], -v[14:15], v[20:21], v[18:19]
	v_div_fmas_f64 v[14:15], v[14:15], v[16:17], v[20:21]
	v_div_fixup_f64 v[6:7], v[14:15], v[8:9], v[6:7]
	v_fma_f64 v[6:7], v[6:7], v[6:7], 1.0
	s_brev_b32 s11, 8
	v_mov_b32_e32 v14, 0x100
	v_cmp_gt_f64_e32 vcc, s[10:11], v[6:7]
	s_nop 1
	v_cndmask_b32_e32 v14, 0, v14, vcc
	v_ldexp_f64 v[6:7], v[6:7], v14
	v_rsq_f64_e32 v[14:15], v[6:7]
	s_nop 0
	v_mul_f64 v[16:17], v[6:7], v[14:15]
	v_mul_f64 v[14:15], v[14:15], 0.5
	v_fma_f64 v[18:19], -v[14:15], v[16:17], 0.5
	v_fmac_f64_e32 v[16:17], v[16:17], v[18:19]
	v_fma_f64 v[20:21], -v[16:17], v[16:17], v[6:7]
	v_fmac_f64_e32 v[14:15], v[14:15], v[18:19]
	v_fmac_f64_e32 v[16:17], v[20:21], v[14:15]
	v_fma_f64 v[18:19], -v[16:17], v[16:17], v[6:7]
	v_fmac_f64_e32 v[16:17], v[18:19], v[14:15]
	v_mov_b32_e32 v14, 0xffffff80
	v_cndmask_b32_e32 v14, 0, v14, vcc
	v_ldexp_f64 v[14:15], v[16:17], v14
	v_mov_b32_e32 v16, 0x260
	v_cmp_class_f64_e32 vcc, v[6:7], v16
	s_nop 1
	v_cndmask_b32_e32 v7, v15, v7, vcc
	v_cndmask_b32_e32 v6, v14, v6, vcc
	v_mul_f64 v[14:15], v[8:9], v[6:7]
.LBB48_65:
	s_or_b64 exec, exec, s[8:9]
                                        ; implicit-def: $vgpr6_vgpr7
                                        ; implicit-def: $vgpr8_vgpr9
.LBB48_66:
	s_andn2_saveexec_b64 s[4:5], s[4:5]
	s_cbranch_execz .LBB48_68
; %bb.67:
	v_div_scale_f64 v[14:15], s[8:9], v[6:7], v[6:7], v[8:9]
	v_rcp_f64_e32 v[16:17], v[14:15]
	v_div_scale_f64 v[18:19], vcc, v[8:9], v[6:7], v[8:9]
	s_mov_b32 s8, 0
	v_fma_f64 v[20:21], -v[14:15], v[16:17], 1.0
	v_fmac_f64_e32 v[16:17], v[16:17], v[20:21]
	v_fma_f64 v[20:21], -v[14:15], v[16:17], 1.0
	v_fmac_f64_e32 v[16:17], v[16:17], v[20:21]
	v_mul_f64 v[20:21], v[18:19], v[16:17]
	v_fma_f64 v[14:15], -v[14:15], v[20:21], v[18:19]
	v_div_fmas_f64 v[14:15], v[14:15], v[16:17], v[20:21]
	v_div_fixup_f64 v[8:9], v[14:15], v[6:7], v[8:9]
	v_fma_f64 v[8:9], v[8:9], v[8:9], 1.0
	s_brev_b32 s9, 8
	v_mov_b32_e32 v14, 0x100
	v_cmp_gt_f64_e32 vcc, s[8:9], v[8:9]
	s_nop 1
	v_cndmask_b32_e32 v14, 0, v14, vcc
	v_ldexp_f64 v[8:9], v[8:9], v14
	v_rsq_f64_e32 v[14:15], v[8:9]
	s_nop 0
	v_mul_f64 v[16:17], v[8:9], v[14:15]
	v_mul_f64 v[14:15], v[14:15], 0.5
	v_fma_f64 v[18:19], -v[14:15], v[16:17], 0.5
	v_fmac_f64_e32 v[16:17], v[16:17], v[18:19]
	v_fma_f64 v[20:21], -v[16:17], v[16:17], v[8:9]
	v_fmac_f64_e32 v[14:15], v[14:15], v[18:19]
	v_fmac_f64_e32 v[16:17], v[20:21], v[14:15]
	v_fma_f64 v[18:19], -v[16:17], v[16:17], v[8:9]
	v_fmac_f64_e32 v[16:17], v[18:19], v[14:15]
	v_mov_b32_e32 v14, 0xffffff80
	v_cndmask_b32_e32 v14, 0, v14, vcc
	v_ldexp_f64 v[14:15], v[16:17], v14
	v_mov_b32_e32 v16, 0x260
	v_cmp_class_f64_e32 vcc, v[8:9], v16
	s_nop 1
	v_cndmask_b32_e32 v9, v15, v9, vcc
	v_cndmask_b32_e32 v8, v14, v8, vcc
	v_mul_f64 v[14:15], v[6:7], v[8:9]
.LBB48_68:
	s_or_b64 exec, exec, s[4:5]
	v_cmp_eq_u32_e64 s[4:5], 0, v22
	s_and_b64 vcc, exec, s[6:7]
	s_mov_b64 s[6:7], -1
	s_cbranch_vccnz .LBB48_72
; %bb.69:
	s_cmp_eq_u64 s[24:25], 8
	v_cvt_f64_f32_e32 v[6:7], v23
	s_cselect_b64 vcc, -1, 0
	v_cndmask_b32_e32 v7, v7, v13, vcc
	v_cndmask_b32_e32 v6, v6, v12, vcc
	v_cmp_le_f64_e32 vcc, v[14:15], v[6:7]
	s_and_b64 s[8:9], s[4:5], vcc
	s_and_saveexec_b64 s[6:7], s[8:9]
	s_cbranch_execz .LBB48_71
; %bb.70:
	global_store_dwordx4 v[4:5], v[26:29], off
	buffer_wbl2 sc1
	s_waitcnt vmcnt(0)
	buffer_inv sc1
.LBB48_71:
	s_or_b64 exec, exec, s[6:7]
	s_mov_b64 s[6:7], 0
.LBB48_72:
	s_andn2_b64 vcc, exec, s[6:7]
	s_cbranch_vccnz .LBB48_83
; %bb.73:
	s_load_dwordx2 s[0:1], s[0:1], 0x48
	v_add_u32_e32 v4, s34, v10
	s_waitcnt lgkmcnt(0)
	v_cmp_ge_f64_e32 vcc, s[0:1], v[14:15]
	s_and_b64 s[6:7], s[4:5], vcc
	s_and_saveexec_b64 s[0:1], s[6:7]
	s_cbranch_execz .LBB48_78
; %bb.74:
	s_mov_b64 s[6:7], exec
	s_brev_b32 s8, -2
.LBB48_75:                              ; =>This Inner Loop Header: Depth=1
	s_ff1_i32_b64 s9, s[6:7]
	v_readlane_b32 s12, v4, s9
	s_lshl_b64 s[10:11], 1, s9
	s_min_i32 s8, s8, s12
	s_andn2_b64 s[6:7], s[6:7], s[10:11]
	s_cmp_lg_u64 s[6:7], 0
	s_cbranch_scc1 .LBB48_75
; %bb.76:
	v_mbcnt_lo_u32_b32 v5, exec_lo, 0
	v_mbcnt_hi_u32_b32 v5, exec_hi, v5
	v_cmp_eq_u32_e32 vcc, 0, v5
	s_and_saveexec_b64 s[6:7], vcc
	s_xor_b64 s[6:7], exec, s[6:7]
	s_cbranch_execz .LBB48_78
; %bb.77:
	v_mov_b32_e32 v5, 0
	v_mov_b32_e32 v6, s8
	global_atomic_smin v5, v6, s[22:23]
.LBB48_78:
	s_or_b64 exec, exec, s[0:1]
	v_cmp_eq_f64_e32 vcc, 0, v[0:1]
	v_cmp_eq_f64_e64 s[0:1], 0, v[2:3]
	s_and_b64 s[0:1], vcc, s[0:1]
	s_and_b64 s[0:1], s[4:5], s[0:1]
	s_and_b64 exec, exec, s[0:1]
	s_cbranch_execz .LBB48_83
; %bb.79:
	s_mov_b64 s[0:1], exec
	s_brev_b32 s4, -2
.LBB48_80:                              ; =>This Inner Loop Header: Depth=1
	s_ff1_i32_b64 s5, s[0:1]
	v_readlane_b32 s8, v4, s5
	s_lshl_b64 s[6:7], 1, s5
	s_min_i32 s4, s4, s8
	s_andn2_b64 s[0:1], s[0:1], s[6:7]
	s_cmp_lg_u64 s[0:1], 0
	s_cbranch_scc1 .LBB48_80
; %bb.81:
	v_mbcnt_lo_u32_b32 v0, exec_lo, 0
	v_mbcnt_hi_u32_b32 v0, exec_hi, v0
	v_cmp_eq_u32_e32 vcc, 0, v0
	s_and_saveexec_b64 s[0:1], vcc
	s_xor_b64 s[0:1], exec, s[0:1]
	s_cbranch_execz .LBB48_83
; %bb.82:
	v_mov_b32_e32 v0, 0
	v_mov_b32_e32 v1, s4
	global_atomic_smin v0, v1, s[20:21]
.LBB48_83:
	s_or_b64 exec, exec, s[2:3]
	v_cmp_eq_u32_e32 vcc, 0, v22
	buffer_wbl2 sc1
	s_waitcnt vmcnt(0)
	buffer_inv sc1
	s_and_b64 exec, exec, vcc
	s_cbranch_execz .LBB48_85
; %bb.84:
	v_lshl_add_u64 v[0:1], v[10:11], 2, s[16:17]
	v_mov_b32_e32 v2, 1
	buffer_wbl2 sc1
	global_store_dword v[0:1], v2, off sc1
.LBB48_85:
	s_endpgm
	.section	.rodata,"a",@progbits
	.p2align	6, 0x0
	.amdhsa_kernel _ZN9rocsparseL12csrilu0_hashILj256ELj64ELj4E21rocsparse_complex_numIdEEEviPKiS4_PT2_S4_PiS4_S7_S7_d21rocsparse_index_base_imNS_24const_host_device_scalarIfEENS9_IdEENS9_IS5_EEb
		.amdhsa_group_segment_fixed_size 8192
		.amdhsa_private_segment_fixed_size 16
		.amdhsa_kernarg_size 132
		.amdhsa_user_sgpr_count 2
		.amdhsa_user_sgpr_dispatch_ptr 0
		.amdhsa_user_sgpr_queue_ptr 0
		.amdhsa_user_sgpr_kernarg_segment_ptr 1
		.amdhsa_user_sgpr_dispatch_id 0
		.amdhsa_user_sgpr_kernarg_preload_length 0
		.amdhsa_user_sgpr_kernarg_preload_offset 0
		.amdhsa_user_sgpr_private_segment_size 0
		.amdhsa_uses_dynamic_stack 0
		.amdhsa_enable_private_segment 1
		.amdhsa_system_sgpr_workgroup_id_x 1
		.amdhsa_system_sgpr_workgroup_id_y 0
		.amdhsa_system_sgpr_workgroup_id_z 0
		.amdhsa_system_sgpr_workgroup_info 0
		.amdhsa_system_vgpr_workitem_id 0
		.amdhsa_next_free_vgpr 38
		.amdhsa_next_free_sgpr 62
		.amdhsa_accum_offset 40
		.amdhsa_reserve_vcc 1
		.amdhsa_float_round_mode_32 0
		.amdhsa_float_round_mode_16_64 0
		.amdhsa_float_denorm_mode_32 3
		.amdhsa_float_denorm_mode_16_64 3
		.amdhsa_dx10_clamp 1
		.amdhsa_ieee_mode 1
		.amdhsa_fp16_overflow 0
		.amdhsa_tg_split 0
		.amdhsa_exception_fp_ieee_invalid_op 0
		.amdhsa_exception_fp_denorm_src 0
		.amdhsa_exception_fp_ieee_div_zero 0
		.amdhsa_exception_fp_ieee_overflow 0
		.amdhsa_exception_fp_ieee_underflow 0
		.amdhsa_exception_fp_ieee_inexact 0
		.amdhsa_exception_int_div_zero 0
	.end_amdhsa_kernel
	.section	.text._ZN9rocsparseL12csrilu0_hashILj256ELj64ELj4E21rocsparse_complex_numIdEEEviPKiS4_PT2_S4_PiS4_S7_S7_d21rocsparse_index_base_imNS_24const_host_device_scalarIfEENS9_IdEENS9_IS5_EEb,"axG",@progbits,_ZN9rocsparseL12csrilu0_hashILj256ELj64ELj4E21rocsparse_complex_numIdEEEviPKiS4_PT2_S4_PiS4_S7_S7_d21rocsparse_index_base_imNS_24const_host_device_scalarIfEENS9_IdEENS9_IS5_EEb,comdat
.Lfunc_end48:
	.size	_ZN9rocsparseL12csrilu0_hashILj256ELj64ELj4E21rocsparse_complex_numIdEEEviPKiS4_PT2_S4_PiS4_S7_S7_d21rocsparse_index_base_imNS_24const_host_device_scalarIfEENS9_IdEENS9_IS5_EEb, .Lfunc_end48-_ZN9rocsparseL12csrilu0_hashILj256ELj64ELj4E21rocsparse_complex_numIdEEEviPKiS4_PT2_S4_PiS4_S7_S7_d21rocsparse_index_base_imNS_24const_host_device_scalarIfEENS9_IdEENS9_IS5_EEb
                                        ; -- End function
	.set _ZN9rocsparseL12csrilu0_hashILj256ELj64ELj4E21rocsparse_complex_numIdEEEviPKiS4_PT2_S4_PiS4_S7_S7_d21rocsparse_index_base_imNS_24const_host_device_scalarIfEENS9_IdEENS9_IS5_EEb.num_vgpr, 38
	.set _ZN9rocsparseL12csrilu0_hashILj256ELj64ELj4E21rocsparse_complex_numIdEEEviPKiS4_PT2_S4_PiS4_S7_S7_d21rocsparse_index_base_imNS_24const_host_device_scalarIfEENS9_IdEENS9_IS5_EEb.num_agpr, 0
	.set _ZN9rocsparseL12csrilu0_hashILj256ELj64ELj4E21rocsparse_complex_numIdEEEviPKiS4_PT2_S4_PiS4_S7_S7_d21rocsparse_index_base_imNS_24const_host_device_scalarIfEENS9_IdEENS9_IS5_EEb.numbered_sgpr, 62
	.set _ZN9rocsparseL12csrilu0_hashILj256ELj64ELj4E21rocsparse_complex_numIdEEEviPKiS4_PT2_S4_PiS4_S7_S7_d21rocsparse_index_base_imNS_24const_host_device_scalarIfEENS9_IdEENS9_IS5_EEb.num_named_barrier, 0
	.set _ZN9rocsparseL12csrilu0_hashILj256ELj64ELj4E21rocsparse_complex_numIdEEEviPKiS4_PT2_S4_PiS4_S7_S7_d21rocsparse_index_base_imNS_24const_host_device_scalarIfEENS9_IdEENS9_IS5_EEb.private_seg_size, 16
	.set _ZN9rocsparseL12csrilu0_hashILj256ELj64ELj4E21rocsparse_complex_numIdEEEviPKiS4_PT2_S4_PiS4_S7_S7_d21rocsparse_index_base_imNS_24const_host_device_scalarIfEENS9_IdEENS9_IS5_EEb.uses_vcc, 1
	.set _ZN9rocsparseL12csrilu0_hashILj256ELj64ELj4E21rocsparse_complex_numIdEEEviPKiS4_PT2_S4_PiS4_S7_S7_d21rocsparse_index_base_imNS_24const_host_device_scalarIfEENS9_IdEENS9_IS5_EEb.uses_flat_scratch, 0
	.set _ZN9rocsparseL12csrilu0_hashILj256ELj64ELj4E21rocsparse_complex_numIdEEEviPKiS4_PT2_S4_PiS4_S7_S7_d21rocsparse_index_base_imNS_24const_host_device_scalarIfEENS9_IdEENS9_IS5_EEb.has_dyn_sized_stack, 0
	.set _ZN9rocsparseL12csrilu0_hashILj256ELj64ELj4E21rocsparse_complex_numIdEEEviPKiS4_PT2_S4_PiS4_S7_S7_d21rocsparse_index_base_imNS_24const_host_device_scalarIfEENS9_IdEENS9_IS5_EEb.has_recursion, 0
	.set _ZN9rocsparseL12csrilu0_hashILj256ELj64ELj4E21rocsparse_complex_numIdEEEviPKiS4_PT2_S4_PiS4_S7_S7_d21rocsparse_index_base_imNS_24const_host_device_scalarIfEENS9_IdEENS9_IS5_EEb.has_indirect_call, 0
	.section	.AMDGPU.csdata,"",@progbits
; Kernel info:
; codeLenInByte = 3164
; TotalNumSgprs: 68
; NumVgprs: 38
; NumAgprs: 0
; TotalNumVgprs: 38
; ScratchSize: 16
; MemoryBound: 0
; FloatMode: 240
; IeeeMode: 1
; LDSByteSize: 8192 bytes/workgroup (compile time only)
; SGPRBlocks: 8
; VGPRBlocks: 4
; NumSGPRsForWavesPerEU: 68
; NumVGPRsForWavesPerEU: 38
; AccumOffset: 40
; Occupancy: 8
; WaveLimiterHint : 1
; COMPUTE_PGM_RSRC2:SCRATCH_EN: 1
; COMPUTE_PGM_RSRC2:USER_SGPR: 2
; COMPUTE_PGM_RSRC2:TRAP_HANDLER: 0
; COMPUTE_PGM_RSRC2:TGID_X_EN: 1
; COMPUTE_PGM_RSRC2:TGID_Y_EN: 0
; COMPUTE_PGM_RSRC2:TGID_Z_EN: 0
; COMPUTE_PGM_RSRC2:TIDIG_COMP_CNT: 0
; COMPUTE_PGM_RSRC3_GFX90A:ACCUM_OFFSET: 9
; COMPUTE_PGM_RSRC3_GFX90A:TG_SPLIT: 0
	.section	.text._ZN9rocsparseL12csrilu0_hashILj256ELj64ELj8E21rocsparse_complex_numIdEEEviPKiS4_PT2_S4_PiS4_S7_S7_d21rocsparse_index_base_imNS_24const_host_device_scalarIfEENS9_IdEENS9_IS5_EEb,"axG",@progbits,_ZN9rocsparseL12csrilu0_hashILj256ELj64ELj8E21rocsparse_complex_numIdEEEviPKiS4_PT2_S4_PiS4_S7_S7_d21rocsparse_index_base_imNS_24const_host_device_scalarIfEENS9_IdEENS9_IS5_EEb,comdat
	.globl	_ZN9rocsparseL12csrilu0_hashILj256ELj64ELj8E21rocsparse_complex_numIdEEEviPKiS4_PT2_S4_PiS4_S7_S7_d21rocsparse_index_base_imNS_24const_host_device_scalarIfEENS9_IdEENS9_IS5_EEb ; -- Begin function _ZN9rocsparseL12csrilu0_hashILj256ELj64ELj8E21rocsparse_complex_numIdEEEviPKiS4_PT2_S4_PiS4_S7_S7_d21rocsparse_index_base_imNS_24const_host_device_scalarIfEENS9_IdEENS9_IS5_EEb
	.p2align	8
	.type	_ZN9rocsparseL12csrilu0_hashILj256ELj64ELj8E21rocsparse_complex_numIdEEEviPKiS4_PT2_S4_PiS4_S7_S7_d21rocsparse_index_base_imNS_24const_host_device_scalarIfEENS9_IdEENS9_IS5_EEb,@function
_ZN9rocsparseL12csrilu0_hashILj256ELj64ELj8E21rocsparse_complex_numIdEEEviPKiS4_PT2_S4_PiS4_S7_S7_d21rocsparse_index_base_imNS_24const_host_device_scalarIfEENS9_IdEENS9_IS5_EEb: ; @_ZN9rocsparseL12csrilu0_hashILj256ELj64ELj8E21rocsparse_complex_numIdEEEviPKiS4_PT2_S4_PiS4_S7_S7_d21rocsparse_index_base_imNS_24const_host_device_scalarIfEENS9_IdEENS9_IS5_EEb
; %bb.0:
	s_load_dword s3, s[0:1], 0x80
	s_load_dwordx8 s[24:31], s[0:1], 0x58
	s_load_dwordx2 s[4:5], s[0:1], 0x78
	s_load_dwordx2 s[34:35], s[0:1], 0x50
	s_waitcnt lgkmcnt(0)
	s_bitcmp1_b32 s3, 0
	s_cselect_b64 s[8:9], -1, 0
	v_mov_b64_e32 v[2:3], s[30:31]
	s_cmp_eq_u32 s35, 0
	s_cselect_b64 s[14:15], -1, 0
	s_cmp_lg_u32 s35, 0
	s_cselect_b64 s[10:11], -1, 0
	s_or_b64 s[16:17], s[14:15], s[8:9]
	s_xor_b64 s[6:7], s[16:17], -1
	s_and_b64 s[12:13], s[14:15], exec
	s_cselect_b32 s13, 0, s29
	s_cselect_b32 s12, 0, s28
	s_and_b64 vcc, exec, s[16:17]
	scratch_store_dwordx2 off, v[2:3], off
	s_cbranch_vccnz .LBB49_2
; %bb.1:
	s_load_dword s3, s[26:27], 0x0
	s_mov_b64 s[12:13], s[28:29]
	s_waitcnt lgkmcnt(0)
	v_mov_b32_e32 v23, s3
	s_andn2_b64 vcc, exec, s[6:7]
	v_mov_b64_e32 v[12:13], s[12:13]
	s_cbranch_vccz .LBB49_3
	s_branch .LBB49_4
.LBB49_2:
	v_mov_b32_e32 v1, s26
	v_cndmask_b32_e64 v23, v1, 0, s[14:15]
	s_andn2_b64 vcc, exec, s[6:7]
	v_mov_b64_e32 v[12:13], s[12:13]
	s_cbranch_vccnz .LBB49_4
.LBB49_3:
	v_mov_b64_e32 v[2:3], s[28:29]
	flat_load_dwordx2 v[12:13], v[2:3]
.LBB49_4:
	v_cndmask_b32_e64 v1, 0, 1, s[10:11]
	v_mov_b64_e32 v[28:29], 0
	v_cmp_ne_u32_e64 s[6:7], 1, v1
	s_andn2_b64 vcc, exec, s[10:11]
	v_mov_b64_e32 v[26:27], 0
	s_cbranch_vccnz .LBB49_7
; %bb.5:
	s_xor_b64 s[12:13], s[8:9], -1
	s_mov_b64 s[10:11], src_private_base
	s_and_b64 s[8:9], s[8:9], exec
	s_cselect_b32 s3, s11, s31
	s_cselect_b32 s8, 0, s30
	v_mov_b32_e32 v2, s8
	v_mov_b32_e32 v3, s3
	flat_load_dwordx2 v[26:27], v[2:3]
	s_andn2_b64 vcc, exec, s[12:13]
	v_mov_b64_e32 v[28:29], s[4:5]
	s_cbranch_vccnz .LBB49_7
; %bb.6:
	v_mov_b64_e32 v[2:3], s[30:31]
	flat_load_dwordx2 v[28:29], v[2:3] offset:8
.LBB49_7:
	s_load_dword s3, s[0:1], 0x0
	v_lshlrev_b32_e32 v1, 3, v0
	s_lshl_b32 s2, s2, 2
	v_and_b32_e32 v22, 63, v0
	v_and_b32_e32 v1, 0x600, v1
	v_mov_b32_e32 v2, 0x2000
	v_lshrrev_b32_e32 v0, 6, v0
	s_and_b32 s2, s2, 0x3fffffc
	v_lshl_or_b32 v15, v1, 2, v2
	v_or_b32_e32 v0, s2, v0
	v_lshl_or_b32 v2, v22, 2, v15
	v_mov_b32_e32 v3, -1
	s_waitcnt lgkmcnt(0)
	v_cmp_gt_i32_e32 vcc, s3, v0
	ds_write2st64_b32 v2, v3, v3 offset1:1
	ds_write2st64_b32 v2, v3, v3 offset0:2 offset1:3
	ds_write2st64_b32 v2, v3, v3 offset0:4 offset1:5
	;; [unrolled: 1-line block ×3, first 2 shown]
	s_waitcnt lgkmcnt(0)
	s_and_saveexec_b64 s[2:3], vcc
	s_cbranch_execz .LBB49_85
; %bb.8:
	s_load_dwordx16 s[8:23], s[0:1], 0x8
	v_lshlrev_b32_e32 v0, 2, v0
	v_lshlrev_b32_e32 v24, 2, v1
	s_waitcnt lgkmcnt(0)
	global_load_dword v10, v0, s[18:19]
	s_waitcnt vmcnt(0)
	v_ashrrev_i32_e32 v11, 31, v10
	v_lshlrev_b64 v[2:3], 2, v[10:11]
	v_lshl_add_u64 v[4:5], s[8:9], 0, v[2:3]
	global_load_dwordx2 v[4:5], v[4:5], off
	v_lshl_add_u64 v[2:3], s[14:15], 0, v[2:3]
	global_load_dword v14, v[2:3], off
	s_waitcnt vmcnt(1)
	v_subrev_u32_e32 v16, s34, v4
	v_subrev_u32_e32 v2, s34, v5
	v_add_u32_e32 v0, v16, v22
	v_cmp_lt_i32_e32 vcc, v0, v2
	s_and_saveexec_b64 s[2:3], vcc
	s_cbranch_execz .LBB49_31
; %bb.9:
	s_mov_b64 s[4:5], 0
	s_movk_i32 s33, 0x67
	v_mov_b32_e32 v3, -1
	s_branch .LBB49_11
.LBB49_10:                              ;   in Loop: Header=BB49_11 Depth=1
	s_or_b64 exec, exec, s[18:19]
	v_add_u32_e32 v0, 64, v0
	v_cmp_ge_i32_e32 vcc, v0, v2
	s_or_b64 s[4:5], vcc, s[4:5]
	s_andn2_b64 exec, exec, s[4:5]
	s_cbranch_execz .LBB49_31
.LBB49_11:                              ; =>This Loop Header: Depth=1
                                        ;     Child Loop BB49_20 Depth 2
	v_ashrrev_i32_e32 v1, 31, v0
	v_lshl_add_u64 v[4:5], v[0:1], 2, s[10:11]
	global_load_dword v1, v[4:5], off
	v_mov_b32_e32 v4, 0x200
	s_mov_b64 s[26:27], 0
                                        ; implicit-def: $sgpr18_sgpr19
                                        ; implicit-def: $sgpr28_sgpr29
                                        ; implicit-def: $sgpr30_sgpr31
	s_waitcnt vmcnt(0)
	v_mul_lo_u32 v6, v1, s33
	s_branch .LBB49_20
.LBB49_12:                              ;   in Loop: Header=BB49_20 Depth=2
	s_or_b64 exec, exec, s[54:55]
	s_orn2_b64 s[50:51], s[50:51], exec
	s_orn2_b64 s[52:53], s[52:53], exec
.LBB49_13:                              ;   in Loop: Header=BB49_20 Depth=2
	s_or_b64 exec, exec, s[48:49]
	s_and_b64 s[50:51], s[50:51], exec
	s_orn2_b64 s[48:49], s[52:53], exec
.LBB49_14:                              ;   in Loop: Header=BB49_20 Depth=2
	s_or_b64 exec, exec, s[46:47]
	s_orn2_b64 s[50:51], s[50:51], exec
	s_orn2_b64 s[46:47], s[48:49], exec
.LBB49_15:                              ;   in Loop: Header=BB49_20 Depth=2
	s_or_b64 exec, exec, s[44:45]
	s_and_b64 s[48:49], s[50:51], exec
	s_orn2_b64 s[44:45], s[46:47], exec
.LBB49_16:                              ;   in Loop: Header=BB49_20 Depth=2
	s_or_b64 exec, exec, s[42:43]
	s_orn2_b64 s[42:43], s[48:49], exec
	s_orn2_b64 s[44:45], s[44:45], exec
.LBB49_17:                              ;   in Loop: Header=BB49_20 Depth=2
	s_or_b64 exec, exec, s[40:41]
	s_and_b64 s[42:43], s[42:43], exec
	s_orn2_b64 s[40:41], s[44:45], exec
.LBB49_18:                              ;   in Loop: Header=BB49_20 Depth=2
	s_or_b64 exec, exec, s[38:39]
	s_andn2_b64 s[30:31], s[30:31], exec
	s_and_b64 s[38:39], s[42:43], exec
	s_or_b64 s[30:31], s[30:31], s[38:39]
	s_andn2_b64 s[28:29], s[28:29], exec
	s_and_b64 s[38:39], s[40:41], exec
	s_or_b64 s[28:29], s[28:29], s[38:39]
.LBB49_19:                              ;   in Loop: Header=BB49_20 Depth=2
	s_or_b64 exec, exec, s[36:37]
	s_and_b64 s[36:37], exec, s[28:29]
	s_or_b64 s[26:27], s[36:37], s[26:27]
	s_andn2_b64 s[18:19], s[18:19], exec
	s_and_b64 s[36:37], s[30:31], exec
	s_or_b64 s[18:19], s[18:19], s[36:37]
	s_andn2_b64 exec, exec, s[26:27]
	s_cbranch_execz .LBB49_29
.LBB49_20:                              ;   Parent Loop BB49_11 Depth=1
                                        ; =>  This Inner Loop Header: Depth=2
	v_and_b32_e32 v5, 0x1ff, v6
	v_lshl_add_u32 v7, v5, 2, v15
	ds_read_b32 v8, v7
	s_or_b64 s[30:31], s[30:31], exec
	s_or_b64 s[28:29], s[28:29], exec
	s_waitcnt lgkmcnt(0)
	v_cmp_ne_u32_e32 vcc, v8, v1
	s_and_saveexec_b64 s[36:37], vcc
	s_cbranch_execz .LBB49_19
; %bb.21:                               ;   in Loop: Header=BB49_20 Depth=2
	ds_cmpst_rtn_b32 v7, v7, v3, v1
	s_mov_b64 s[40:41], -1
	s_mov_b64 s[42:43], 0
	s_waitcnt lgkmcnt(0)
	v_cmp_ne_u32_e32 vcc, -1, v7
	s_and_saveexec_b64 s[38:39], vcc
	s_cbranch_execz .LBB49_18
; %bb.22:                               ;   in Loop: Header=BB49_20 Depth=2
	v_add_u32_e32 v5, 1, v6
	v_and_b32_e32 v5, 0x1ff, v5
	v_lshl_add_u32 v7, v5, 2, v15
	ds_read_b32 v8, v7
	s_mov_b64 s[44:45], -1
	s_mov_b64 s[42:43], -1
	s_waitcnt lgkmcnt(0)
	v_cmp_ne_u32_e32 vcc, v8, v1
	s_and_saveexec_b64 s[40:41], vcc
	s_cbranch_execz .LBB49_17
; %bb.23:                               ;   in Loop: Header=BB49_20 Depth=2
	ds_cmpst_rtn_b32 v7, v7, v3, v1
	s_mov_b64 s[48:49], 0
	s_waitcnt lgkmcnt(0)
	v_cmp_ne_u32_e32 vcc, -1, v7
	s_and_saveexec_b64 s[42:43], vcc
	s_cbranch_execz .LBB49_16
; %bb.24:                               ;   in Loop: Header=BB49_20 Depth=2
	v_add_u32_e32 v5, 2, v6
	v_and_b32_e32 v5, 0x1ff, v5
	v_lshl_add_u32 v7, v5, 2, v15
	ds_read_b32 v8, v7
	s_mov_b64 s[46:47], -1
	s_mov_b64 s[50:51], -1
	s_waitcnt lgkmcnt(0)
	v_cmp_ne_u32_e32 vcc, v8, v1
	s_and_saveexec_b64 s[44:45], vcc
	s_cbranch_execz .LBB49_15
; %bb.25:                               ;   in Loop: Header=BB49_20 Depth=2
	ds_cmpst_rtn_b32 v7, v7, v3, v1
	s_mov_b64 s[48:49], -1
	s_mov_b64 s[50:51], 0
	s_waitcnt lgkmcnt(0)
	v_cmp_ne_u32_e32 vcc, -1, v7
	s_and_saveexec_b64 s[46:47], vcc
	s_cbranch_execz .LBB49_14
; %bb.26:                               ;   in Loop: Header=BB49_20 Depth=2
	v_add_u32_e32 v5, 3, v6
	v_and_b32_e32 v5, 0x1ff, v5
	v_lshl_add_u32 v7, v5, 2, v15
	ds_read_b32 v6, v7
	s_mov_b64 s[52:53], -1
	s_mov_b64 s[50:51], -1
	s_waitcnt lgkmcnt(0)
	v_cmp_ne_u32_e32 vcc, v6, v1
                                        ; implicit-def: $vgpr6
	s_and_saveexec_b64 s[48:49], vcc
	s_cbranch_execz .LBB49_13
; %bb.27:                               ;   in Loop: Header=BB49_20 Depth=2
	ds_cmpst_rtn_b32 v6, v7, v3, v1
	s_mov_b64 s[50:51], 0
	s_waitcnt lgkmcnt(0)
	v_cmp_ne_u32_e32 vcc, -1, v6
                                        ; implicit-def: $vgpr6
	s_and_saveexec_b64 s[54:55], vcc
	s_cbranch_execz .LBB49_12
; %bb.28:                               ;   in Loop: Header=BB49_20 Depth=2
	v_add_u32_e32 v4, -4, v4
	v_cmp_eq_u32_e32 vcc, 0, v4
	s_mov_b64 s[50:51], exec
	v_add_u32_e32 v6, 1, v5
	s_orn2_b64 s[52:53], vcc, exec
	s_branch .LBB49_12
.LBB49_29:                              ;   in Loop: Header=BB49_11 Depth=1
	s_or_b64 exec, exec, s[26:27]
	s_xor_b64 s[18:19], s[18:19], -1
	s_and_saveexec_b64 s[26:27], s[18:19]
	s_xor_b64 s[18:19], exec, s[26:27]
	s_cbranch_execz .LBB49_10
; %bb.30:                               ;   in Loop: Header=BB49_11 Depth=1
	v_lshl_add_u32 v1, v5, 2, v24
	ds_write_b32 v1, v0
	s_branch .LBB49_10
.LBB49_31:
	s_or_b64 exec, exec, s[2:3]
	s_waitcnt vmcnt(0)
	v_cmp_lt_i32_e32 vcc, v16, v14
	s_waitcnt lgkmcnt(0)
	s_and_saveexec_b64 s[4:5], vcc
	s_cbranch_execz .LBB49_61
; %bb.32:
	v_add_u32_e32 v25, 1, v22
	s_mov_b64 s[18:19], 0
	s_movk_i32 s33, 0x67
	s_branch .LBB49_35
.LBB49_33:                              ;   in Loop: Header=BB49_35 Depth=1
	s_or_b64 exec, exec, s[26:27]
	v_add_u32_e32 v16, 1, v16
	v_cmp_ge_i32_e32 vcc, v16, v14
	s_orn2_b64 s[26:27], vcc, exec
.LBB49_34:                              ;   in Loop: Header=BB49_35 Depth=1
	s_or_b64 exec, exec, s[2:3]
	s_and_b64 s[2:3], exec, s[26:27]
	s_or_b64 s[18:19], s[2:3], s[18:19]
	s_andn2_b64 exec, exec, s[18:19]
	s_cbranch_execz .LBB49_61
.LBB49_35:                              ; =>This Loop Header: Depth=1
                                        ;     Child Loop BB49_36 Depth 2
                                        ;     Child Loop BB49_41 Depth 2
                                        ;       Child Loop BB49_50 Depth 3
	v_ashrrev_i32_e32 v17, 31, v16
	v_lshl_add_u64 v[0:1], v[16:17], 2, s[10:11]
	global_load_dword v0, v[0:1], off
	v_lshl_add_u64 v[18:19], v[16:17], 4, s[12:13]
	global_load_dwordx4 v[2:5], v[18:19], off
	s_mov_b64 s[2:3], 0
	s_waitcnt vmcnt(1)
	v_subrev_u32_e32 v0, s34, v0
	v_ashrrev_i32_e32 v1, 31, v0
	v_lshlrev_b64 v[0:1], 2, v[0:1]
	v_lshl_add_u64 v[8:9], s[8:9], 0, v[0:1]
	v_lshl_add_u64 v[20:21], s[14:15], 0, v[0:1]
	global_load_dword v7, v[8:9], off offset:4
	global_load_dword v6, v[20:21], off
	v_lshl_add_u64 v[0:1], s[16:17], 0, v[0:1]
.LBB49_36:                              ;   Parent Loop BB49_35 Depth=1
                                        ; =>  This Inner Loop Header: Depth=2
	global_load_dword v8, v[0:1], off sc1
	s_waitcnt vmcnt(0)
	v_cmp_ne_u32_e32 vcc, 0, v8
	s_or_b64 s[2:3], vcc, s[2:3]
	s_andn2_b64 exec, exec, s[2:3]
	s_cbranch_execnz .LBB49_36
; %bb.37:                               ;   in Loop: Header=BB49_35 Depth=1
	s_or_b64 exec, exec, s[2:3]
	v_subrev_u32_e32 v17, s34, v7
	v_add_u32_e32 v0, -1, v17
	v_cmp_eq_u32_e32 vcc, -1, v6
	buffer_inv sc1
	s_mov_b64 s[26:27], -1
	v_cndmask_b32_e32 v20, v6, v0, vcc
	v_ashrrev_i32_e32 v21, 31, v20
	v_lshl_add_u64 v[0:1], v[20:21], 4, s[12:13]
	global_load_dwordx4 v[6:9], v[0:1], off
	s_waitcnt vmcnt(0)
	v_cmp_neq_f64_e32 vcc, 0, v[6:7]
	v_cmp_neq_f64_e64 s[2:3], 0, v[8:9]
	s_or_b64 s[28:29], vcc, s[2:3]
	s_and_saveexec_b64 s[2:3], s[28:29]
	s_cbranch_execz .LBB49_34
; %bb.38:                               ;   in Loop: Header=BB49_35 Depth=1
	v_mul_f64 v[0:1], v[8:9], v[8:9]
	v_fmac_f64_e32 v[0:1], v[6:7], v[6:7]
	v_div_scale_f64 v[30:31], s[26:27], v[0:1], v[0:1], 1.0
	v_rcp_f64_e32 v[32:33], v[30:31]
	v_div_scale_f64 v[34:35], vcc, 1.0, v[0:1], 1.0
	v_fma_f64 v[36:37], -v[30:31], v[32:33], 1.0
	v_fmac_f64_e32 v[32:33], v[32:33], v[36:37]
	v_fma_f64 v[36:37], -v[30:31], v[32:33], 1.0
	v_fmac_f64_e32 v[32:33], v[32:33], v[36:37]
	v_mul_f64 v[36:37], v[34:35], v[32:33]
	v_fma_f64 v[30:31], -v[30:31], v[36:37], v[34:35]
	v_div_fmas_f64 v[30:31], v[30:31], v[32:33], v[36:37]
	v_div_fixup_f64 v[30:31], v[30:31], v[0:1], 1.0
	v_mul_f64 v[0:1], v[4:5], v[8:9]
	v_fmac_f64_e32 v[0:1], v[2:3], v[6:7]
	v_mul_f64 v[2:3], v[8:9], -v[2:3]
	v_fmac_f64_e32 v[2:3], v[4:5], v[6:7]
	v_add_u32_e32 v4, v25, v20
	v_mul_f64 v[0:1], v[0:1], v[30:31]
	v_mul_f64 v[2:3], v[2:3], v[30:31]
	v_cmp_lt_i32_e32 vcc, v4, v17
	global_store_dwordx4 v[18:19], v[0:3], off
	s_and_saveexec_b64 s[26:27], vcc
	s_cbranch_execz .LBB49_33
; %bb.39:                               ;   in Loop: Header=BB49_35 Depth=1
	s_mov_b64 s[28:29], 0
	s_branch .LBB49_41
.LBB49_40:                              ;   in Loop: Header=BB49_41 Depth=2
	s_or_b64 exec, exec, s[30:31]
	v_add_u32_e32 v4, 64, v4
	v_cmp_ge_i32_e32 vcc, v4, v17
	s_or_b64 s[28:29], vcc, s[28:29]
	s_andn2_b64 exec, exec, s[28:29]
	s_cbranch_execz .LBB49_33
.LBB49_41:                              ;   Parent Loop BB49_35 Depth=1
                                        ; =>  This Loop Header: Depth=2
                                        ;       Child Loop BB49_50 Depth 3
	v_ashrrev_i32_e32 v5, 31, v4
	v_lshl_add_u64 v[6:7], v[4:5], 2, s[10:11]
	global_load_dword v6, v[6:7], off
	v_mov_b32_e32 v7, 0x200
	s_mov_b64 s[36:37], 0
                                        ; implicit-def: $sgpr30_sgpr31
                                        ; implicit-def: $sgpr38_sgpr39
                                        ; implicit-def: $sgpr40_sgpr41
	s_waitcnt vmcnt(0)
	v_mul_lo_u32 v9, v6, s33
	s_branch .LBB49_50
.LBB49_42:                              ;   in Loop: Header=BB49_50 Depth=3
	s_or_b64 exec, exec, s[60:61]
	s_orn2_b64 s[56:57], s[56:57], exec
	s_orn2_b64 s[58:59], s[58:59], exec
.LBB49_43:                              ;   in Loop: Header=BB49_50 Depth=3
	s_or_b64 exec, exec, s[54:55]
	s_and_b64 s[56:57], s[56:57], exec
	s_orn2_b64 s[54:55], s[58:59], exec
.LBB49_44:                              ;   in Loop: Header=BB49_50 Depth=3
	s_or_b64 exec, exec, s[52:53]
	s_orn2_b64 s[56:57], s[56:57], exec
	s_orn2_b64 s[52:53], s[54:55], exec
.LBB49_45:                              ;   in Loop: Header=BB49_50 Depth=3
	s_or_b64 exec, exec, s[50:51]
	s_and_b64 s[54:55], s[56:57], exec
	s_orn2_b64 s[50:51], s[52:53], exec
.LBB49_46:                              ;   in Loop: Header=BB49_50 Depth=3
	s_or_b64 exec, exec, s[48:49]
	s_orn2_b64 s[48:49], s[54:55], exec
	s_orn2_b64 s[50:51], s[50:51], exec
.LBB49_47:                              ;   in Loop: Header=BB49_50 Depth=3
	s_or_b64 exec, exec, s[46:47]
	s_and_b64 s[48:49], s[48:49], exec
	s_orn2_b64 s[46:47], s[50:51], exec
.LBB49_48:                              ;   in Loop: Header=BB49_50 Depth=3
	s_or_b64 exec, exec, s[44:45]
	s_andn2_b64 s[40:41], s[40:41], exec
	s_and_b64 s[44:45], s[48:49], exec
	s_or_b64 s[40:41], s[40:41], s[44:45]
	s_andn2_b64 s[38:39], s[38:39], exec
	s_and_b64 s[44:45], s[46:47], exec
	s_or_b64 s[38:39], s[38:39], s[44:45]
.LBB49_49:                              ;   in Loop: Header=BB49_50 Depth=3
	s_or_b64 exec, exec, s[42:43]
	s_and_b64 s[42:43], exec, s[38:39]
	s_or_b64 s[36:37], s[42:43], s[36:37]
	s_andn2_b64 s[30:31], s[30:31], exec
	s_and_b64 s[42:43], s[40:41], exec
	s_or_b64 s[30:31], s[30:31], s[42:43]
	s_andn2_b64 exec, exec, s[36:37]
	s_cbranch_execz .LBB49_59
.LBB49_50:                              ;   Parent Loop BB49_35 Depth=1
                                        ;     Parent Loop BB49_41 Depth=2
                                        ; =>    This Inner Loop Header: Depth=3
	v_and_b32_e32 v8, 0x1ff, v9
	v_lshl_add_u32 v18, v8, 2, v15
	ds_read_b32 v18, v18
	s_or_b64 s[40:41], s[40:41], exec
	s_or_b64 s[38:39], s[38:39], exec
	s_waitcnt lgkmcnt(0)
	v_cmp_ne_u32_e32 vcc, -1, v18
	s_and_saveexec_b64 s[42:43], vcc
	s_cbranch_execz .LBB49_49
; %bb.51:                               ;   in Loop: Header=BB49_50 Depth=3
	v_cmp_ne_u32_e32 vcc, v18, v6
	s_mov_b64 s[46:47], -1
	s_mov_b64 s[48:49], 0
	s_and_saveexec_b64 s[44:45], vcc
	s_cbranch_execz .LBB49_48
; %bb.52:                               ;   in Loop: Header=BB49_50 Depth=3
	v_add_u32_e32 v8, 1, v9
	v_and_b32_e32 v8, 0x1ff, v8
	v_lshl_add_u32 v18, v8, 2, v15
	ds_read_b32 v18, v18
	s_mov_b64 s[50:51], -1
	s_mov_b64 s[48:49], -1
	s_waitcnt lgkmcnt(0)
	v_cmp_ne_u32_e32 vcc, -1, v18
	s_and_saveexec_b64 s[46:47], vcc
	s_cbranch_execz .LBB49_47
; %bb.53:                               ;   in Loop: Header=BB49_50 Depth=3
	v_cmp_ne_u32_e32 vcc, v18, v6
	s_mov_b64 s[54:55], 0
	s_and_saveexec_b64 s[48:49], vcc
	s_cbranch_execz .LBB49_46
; %bb.54:                               ;   in Loop: Header=BB49_50 Depth=3
	v_add_u32_e32 v8, 2, v9
	v_and_b32_e32 v8, 0x1ff, v8
	v_lshl_add_u32 v18, v8, 2, v15
	ds_read_b32 v18, v18
	s_mov_b64 s[52:53], -1
	s_mov_b64 s[56:57], -1
	s_waitcnt lgkmcnt(0)
	v_cmp_ne_u32_e32 vcc, -1, v18
	s_and_saveexec_b64 s[50:51], vcc
	s_cbranch_execz .LBB49_45
; %bb.55:                               ;   in Loop: Header=BB49_50 Depth=3
	v_cmp_ne_u32_e32 vcc, v18, v6
	s_mov_b64 s[54:55], -1
	s_mov_b64 s[56:57], 0
	s_and_saveexec_b64 s[52:53], vcc
	s_cbranch_execz .LBB49_44
; %bb.56:                               ;   in Loop: Header=BB49_50 Depth=3
	v_add_u32_e32 v8, 3, v9
	v_and_b32_e32 v8, 0x1ff, v8
	v_lshl_add_u32 v9, v8, 2, v15
	ds_read_b32 v18, v9
	s_mov_b64 s[58:59], -1
	s_mov_b64 s[56:57], -1
                                        ; implicit-def: $vgpr9
	s_waitcnt lgkmcnt(0)
	v_cmp_ne_u32_e32 vcc, -1, v18
	s_and_saveexec_b64 s[54:55], vcc
	s_cbranch_execz .LBB49_43
; %bb.57:                               ;   in Loop: Header=BB49_50 Depth=3
	v_cmp_ne_u32_e32 vcc, v18, v6
	s_mov_b64 s[56:57], 0
                                        ; implicit-def: $vgpr9
	s_and_saveexec_b64 s[60:61], vcc
	s_cbranch_execz .LBB49_42
; %bb.58:                               ;   in Loop: Header=BB49_50 Depth=3
	v_add_u32_e32 v7, -4, v7
	v_cmp_eq_u32_e32 vcc, 0, v7
	s_mov_b64 s[56:57], exec
	v_add_u32_e32 v9, 1, v8
	s_orn2_b64 s[58:59], vcc, exec
	s_branch .LBB49_42
.LBB49_59:                              ;   in Loop: Header=BB49_41 Depth=2
	s_or_b64 exec, exec, s[36:37]
	s_xor_b64 s[30:31], s[30:31], -1
	s_and_saveexec_b64 s[36:37], s[30:31]
	s_xor_b64 s[30:31], exec, s[36:37]
	s_cbranch_execz .LBB49_40
; %bb.60:                               ;   in Loop: Header=BB49_41 Depth=2
	v_lshl_add_u32 v6, v8, 2, v24
	ds_read_b32 v6, v6
	v_lshl_add_u64 v[30:31], v[4:5], 4, s[12:13]
	s_waitcnt lgkmcnt(0)
	v_ashrrev_i32_e32 v7, 31, v6
	v_lshl_add_u64 v[32:33], v[6:7], 4, s[12:13]
	global_load_dwordx4 v[6:9], v[30:31], off
	global_load_dwordx4 v[18:21], v[32:33], off
	s_waitcnt vmcnt(0)
	v_fma_f64 v[18:19], -v[0:1], v[6:7], v[18:19]
	v_fma_f64 v[6:7], -v[2:3], v[6:7], v[20:21]
	v_fmac_f64_e32 v[18:19], v[2:3], v[8:9]
	v_fma_f64 v[20:21], -v[0:1], v[8:9], v[6:7]
	global_store_dwordx4 v[32:33], v[18:21], off
	s_branch .LBB49_40
.LBB49_61:
	s_or_b64 exec, exec, s[4:5]
	v_cmp_lt_i32_e32 vcc, -1, v14
	s_and_saveexec_b64 s[2:3], vcc
	s_cbranch_execz .LBB49_83
; %bb.62:
	v_mov_b32_e32 v15, 0
	v_lshl_add_u64 v[4:5], v[14:15], 4, s[12:13]
	global_load_dwordx4 v[0:3], v[4:5], off
                                        ; implicit-def: $vgpr14_vgpr15
	s_waitcnt vmcnt(0)
	v_xor_b32_e32 v7, 0x80000000, v1
	v_cmp_gt_f64_e32 vcc, 0, v[0:1]
	v_xor_b32_e32 v8, 0x80000000, v3
	v_mov_b32_e32 v6, v0
	v_cndmask_b32_e32 v7, v1, v7, vcc
	v_cmp_gt_f64_e32 vcc, 0, v[2:3]
	s_nop 1
	v_cndmask_b32_e32 v9, v3, v8, vcc
	v_mov_b32_e32 v8, v2
	v_cmp_ngt_f64_e32 vcc, v[6:7], v[8:9]
	s_and_saveexec_b64 s[4:5], vcc
	s_xor_b64 s[4:5], exec, s[4:5]
	s_cbranch_execz .LBB49_66
; %bb.63:
	v_mov_b64_e32 v[14:15], 0
	v_cmp_neq_f64_e32 vcc, 0, v[2:3]
	s_and_saveexec_b64 s[8:9], vcc
	s_cbranch_execz .LBB49_65
; %bb.64:
	v_div_scale_f64 v[14:15], s[10:11], v[8:9], v[8:9], v[6:7]
	v_rcp_f64_e32 v[16:17], v[14:15]
	v_div_scale_f64 v[18:19], vcc, v[6:7], v[8:9], v[6:7]
	s_mov_b32 s10, 0
	v_fma_f64 v[20:21], -v[14:15], v[16:17], 1.0
	v_fmac_f64_e32 v[16:17], v[16:17], v[20:21]
	v_fma_f64 v[20:21], -v[14:15], v[16:17], 1.0
	v_fmac_f64_e32 v[16:17], v[16:17], v[20:21]
	v_mul_f64 v[20:21], v[18:19], v[16:17]
	v_fma_f64 v[14:15], -v[14:15], v[20:21], v[18:19]
	v_div_fmas_f64 v[14:15], v[14:15], v[16:17], v[20:21]
	v_div_fixup_f64 v[6:7], v[14:15], v[8:9], v[6:7]
	v_fma_f64 v[6:7], v[6:7], v[6:7], 1.0
	s_brev_b32 s11, 8
	v_mov_b32_e32 v14, 0x100
	v_cmp_gt_f64_e32 vcc, s[10:11], v[6:7]
	s_nop 1
	v_cndmask_b32_e32 v14, 0, v14, vcc
	v_ldexp_f64 v[6:7], v[6:7], v14
	v_rsq_f64_e32 v[14:15], v[6:7]
	s_nop 0
	v_mul_f64 v[16:17], v[6:7], v[14:15]
	v_mul_f64 v[14:15], v[14:15], 0.5
	v_fma_f64 v[18:19], -v[14:15], v[16:17], 0.5
	v_fmac_f64_e32 v[16:17], v[16:17], v[18:19]
	v_fma_f64 v[20:21], -v[16:17], v[16:17], v[6:7]
	v_fmac_f64_e32 v[14:15], v[14:15], v[18:19]
	v_fmac_f64_e32 v[16:17], v[20:21], v[14:15]
	v_fma_f64 v[18:19], -v[16:17], v[16:17], v[6:7]
	v_fmac_f64_e32 v[16:17], v[18:19], v[14:15]
	v_mov_b32_e32 v14, 0xffffff80
	v_cndmask_b32_e32 v14, 0, v14, vcc
	v_ldexp_f64 v[14:15], v[16:17], v14
	v_mov_b32_e32 v16, 0x260
	v_cmp_class_f64_e32 vcc, v[6:7], v16
	s_nop 1
	v_cndmask_b32_e32 v7, v15, v7, vcc
	v_cndmask_b32_e32 v6, v14, v6, vcc
	v_mul_f64 v[14:15], v[8:9], v[6:7]
.LBB49_65:
	s_or_b64 exec, exec, s[8:9]
                                        ; implicit-def: $vgpr6_vgpr7
                                        ; implicit-def: $vgpr8_vgpr9
.LBB49_66:
	s_andn2_saveexec_b64 s[4:5], s[4:5]
	s_cbranch_execz .LBB49_68
; %bb.67:
	v_div_scale_f64 v[14:15], s[8:9], v[6:7], v[6:7], v[8:9]
	v_rcp_f64_e32 v[16:17], v[14:15]
	v_div_scale_f64 v[18:19], vcc, v[8:9], v[6:7], v[8:9]
	s_mov_b32 s8, 0
	v_fma_f64 v[20:21], -v[14:15], v[16:17], 1.0
	v_fmac_f64_e32 v[16:17], v[16:17], v[20:21]
	v_fma_f64 v[20:21], -v[14:15], v[16:17], 1.0
	v_fmac_f64_e32 v[16:17], v[16:17], v[20:21]
	v_mul_f64 v[20:21], v[18:19], v[16:17]
	v_fma_f64 v[14:15], -v[14:15], v[20:21], v[18:19]
	v_div_fmas_f64 v[14:15], v[14:15], v[16:17], v[20:21]
	v_div_fixup_f64 v[8:9], v[14:15], v[6:7], v[8:9]
	v_fma_f64 v[8:9], v[8:9], v[8:9], 1.0
	s_brev_b32 s9, 8
	v_mov_b32_e32 v14, 0x100
	v_cmp_gt_f64_e32 vcc, s[8:9], v[8:9]
	s_nop 1
	v_cndmask_b32_e32 v14, 0, v14, vcc
	v_ldexp_f64 v[8:9], v[8:9], v14
	v_rsq_f64_e32 v[14:15], v[8:9]
	s_nop 0
	v_mul_f64 v[16:17], v[8:9], v[14:15]
	v_mul_f64 v[14:15], v[14:15], 0.5
	v_fma_f64 v[18:19], -v[14:15], v[16:17], 0.5
	v_fmac_f64_e32 v[16:17], v[16:17], v[18:19]
	v_fma_f64 v[20:21], -v[16:17], v[16:17], v[8:9]
	v_fmac_f64_e32 v[14:15], v[14:15], v[18:19]
	v_fmac_f64_e32 v[16:17], v[20:21], v[14:15]
	v_fma_f64 v[18:19], -v[16:17], v[16:17], v[8:9]
	v_fmac_f64_e32 v[16:17], v[18:19], v[14:15]
	v_mov_b32_e32 v14, 0xffffff80
	v_cndmask_b32_e32 v14, 0, v14, vcc
	v_ldexp_f64 v[14:15], v[16:17], v14
	v_mov_b32_e32 v16, 0x260
	v_cmp_class_f64_e32 vcc, v[8:9], v16
	s_nop 1
	v_cndmask_b32_e32 v9, v15, v9, vcc
	v_cndmask_b32_e32 v8, v14, v8, vcc
	v_mul_f64 v[14:15], v[6:7], v[8:9]
.LBB49_68:
	s_or_b64 exec, exec, s[4:5]
	v_cmp_eq_u32_e64 s[4:5], 0, v22
	s_and_b64 vcc, exec, s[6:7]
	s_mov_b64 s[6:7], -1
	s_cbranch_vccnz .LBB49_72
; %bb.69:
	s_cmp_eq_u64 s[24:25], 8
	v_cvt_f64_f32_e32 v[6:7], v23
	s_cselect_b64 vcc, -1, 0
	v_cndmask_b32_e32 v7, v7, v13, vcc
	v_cndmask_b32_e32 v6, v6, v12, vcc
	v_cmp_le_f64_e32 vcc, v[14:15], v[6:7]
	s_and_b64 s[8:9], s[4:5], vcc
	s_and_saveexec_b64 s[6:7], s[8:9]
	s_cbranch_execz .LBB49_71
; %bb.70:
	global_store_dwordx4 v[4:5], v[26:29], off
	buffer_wbl2 sc1
	s_waitcnt vmcnt(0)
	buffer_inv sc1
.LBB49_71:
	s_or_b64 exec, exec, s[6:7]
	s_mov_b64 s[6:7], 0
.LBB49_72:
	s_andn2_b64 vcc, exec, s[6:7]
	s_cbranch_vccnz .LBB49_83
; %bb.73:
	s_load_dwordx2 s[0:1], s[0:1], 0x48
	v_add_u32_e32 v4, s34, v10
	s_waitcnt lgkmcnt(0)
	v_cmp_ge_f64_e32 vcc, s[0:1], v[14:15]
	s_and_b64 s[6:7], s[4:5], vcc
	s_and_saveexec_b64 s[0:1], s[6:7]
	s_cbranch_execz .LBB49_78
; %bb.74:
	s_mov_b64 s[6:7], exec
	s_brev_b32 s8, -2
.LBB49_75:                              ; =>This Inner Loop Header: Depth=1
	s_ff1_i32_b64 s9, s[6:7]
	v_readlane_b32 s12, v4, s9
	s_lshl_b64 s[10:11], 1, s9
	s_min_i32 s8, s8, s12
	s_andn2_b64 s[6:7], s[6:7], s[10:11]
	s_cmp_lg_u64 s[6:7], 0
	s_cbranch_scc1 .LBB49_75
; %bb.76:
	v_mbcnt_lo_u32_b32 v5, exec_lo, 0
	v_mbcnt_hi_u32_b32 v5, exec_hi, v5
	v_cmp_eq_u32_e32 vcc, 0, v5
	s_and_saveexec_b64 s[6:7], vcc
	s_xor_b64 s[6:7], exec, s[6:7]
	s_cbranch_execz .LBB49_78
; %bb.77:
	v_mov_b32_e32 v5, 0
	v_mov_b32_e32 v6, s8
	global_atomic_smin v5, v6, s[22:23]
.LBB49_78:
	s_or_b64 exec, exec, s[0:1]
	v_cmp_eq_f64_e32 vcc, 0, v[0:1]
	v_cmp_eq_f64_e64 s[0:1], 0, v[2:3]
	s_and_b64 s[0:1], vcc, s[0:1]
	s_and_b64 s[0:1], s[4:5], s[0:1]
	s_and_b64 exec, exec, s[0:1]
	s_cbranch_execz .LBB49_83
; %bb.79:
	s_mov_b64 s[0:1], exec
	s_brev_b32 s4, -2
.LBB49_80:                              ; =>This Inner Loop Header: Depth=1
	s_ff1_i32_b64 s5, s[0:1]
	v_readlane_b32 s8, v4, s5
	s_lshl_b64 s[6:7], 1, s5
	s_min_i32 s4, s4, s8
	s_andn2_b64 s[0:1], s[0:1], s[6:7]
	s_cmp_lg_u64 s[0:1], 0
	s_cbranch_scc1 .LBB49_80
; %bb.81:
	v_mbcnt_lo_u32_b32 v0, exec_lo, 0
	v_mbcnt_hi_u32_b32 v0, exec_hi, v0
	v_cmp_eq_u32_e32 vcc, 0, v0
	s_and_saveexec_b64 s[0:1], vcc
	s_xor_b64 s[0:1], exec, s[0:1]
	s_cbranch_execz .LBB49_83
; %bb.82:
	v_mov_b32_e32 v0, 0
	v_mov_b32_e32 v1, s4
	global_atomic_smin v0, v1, s[20:21]
.LBB49_83:
	s_or_b64 exec, exec, s[2:3]
	v_cmp_eq_u32_e32 vcc, 0, v22
	buffer_wbl2 sc1
	s_waitcnt vmcnt(0)
	buffer_inv sc1
	s_and_b64 exec, exec, vcc
	s_cbranch_execz .LBB49_85
; %bb.84:
	v_lshl_add_u64 v[0:1], v[10:11], 2, s[16:17]
	v_mov_b32_e32 v2, 1
	buffer_wbl2 sc1
	global_store_dword v[0:1], v2, off sc1
.LBB49_85:
	s_endpgm
	.section	.rodata,"a",@progbits
	.p2align	6, 0x0
	.amdhsa_kernel _ZN9rocsparseL12csrilu0_hashILj256ELj64ELj8E21rocsparse_complex_numIdEEEviPKiS4_PT2_S4_PiS4_S7_S7_d21rocsparse_index_base_imNS_24const_host_device_scalarIfEENS9_IdEENS9_IS5_EEb
		.amdhsa_group_segment_fixed_size 16384
		.amdhsa_private_segment_fixed_size 16
		.amdhsa_kernarg_size 132
		.amdhsa_user_sgpr_count 2
		.amdhsa_user_sgpr_dispatch_ptr 0
		.amdhsa_user_sgpr_queue_ptr 0
		.amdhsa_user_sgpr_kernarg_segment_ptr 1
		.amdhsa_user_sgpr_dispatch_id 0
		.amdhsa_user_sgpr_kernarg_preload_length 0
		.amdhsa_user_sgpr_kernarg_preload_offset 0
		.amdhsa_user_sgpr_private_segment_size 0
		.amdhsa_uses_dynamic_stack 0
		.amdhsa_enable_private_segment 1
		.amdhsa_system_sgpr_workgroup_id_x 1
		.amdhsa_system_sgpr_workgroup_id_y 0
		.amdhsa_system_sgpr_workgroup_id_z 0
		.amdhsa_system_sgpr_workgroup_info 0
		.amdhsa_system_vgpr_workitem_id 0
		.amdhsa_next_free_vgpr 38
		.amdhsa_next_free_sgpr 62
		.amdhsa_accum_offset 40
		.amdhsa_reserve_vcc 1
		.amdhsa_float_round_mode_32 0
		.amdhsa_float_round_mode_16_64 0
		.amdhsa_float_denorm_mode_32 3
		.amdhsa_float_denorm_mode_16_64 3
		.amdhsa_dx10_clamp 1
		.amdhsa_ieee_mode 1
		.amdhsa_fp16_overflow 0
		.amdhsa_tg_split 0
		.amdhsa_exception_fp_ieee_invalid_op 0
		.amdhsa_exception_fp_denorm_src 0
		.amdhsa_exception_fp_ieee_div_zero 0
		.amdhsa_exception_fp_ieee_overflow 0
		.amdhsa_exception_fp_ieee_underflow 0
		.amdhsa_exception_fp_ieee_inexact 0
		.amdhsa_exception_int_div_zero 0
	.end_amdhsa_kernel
	.section	.text._ZN9rocsparseL12csrilu0_hashILj256ELj64ELj8E21rocsparse_complex_numIdEEEviPKiS4_PT2_S4_PiS4_S7_S7_d21rocsparse_index_base_imNS_24const_host_device_scalarIfEENS9_IdEENS9_IS5_EEb,"axG",@progbits,_ZN9rocsparseL12csrilu0_hashILj256ELj64ELj8E21rocsparse_complex_numIdEEEviPKiS4_PT2_S4_PiS4_S7_S7_d21rocsparse_index_base_imNS_24const_host_device_scalarIfEENS9_IdEENS9_IS5_EEb,comdat
.Lfunc_end49:
	.size	_ZN9rocsparseL12csrilu0_hashILj256ELj64ELj8E21rocsparse_complex_numIdEEEviPKiS4_PT2_S4_PiS4_S7_S7_d21rocsparse_index_base_imNS_24const_host_device_scalarIfEENS9_IdEENS9_IS5_EEb, .Lfunc_end49-_ZN9rocsparseL12csrilu0_hashILj256ELj64ELj8E21rocsparse_complex_numIdEEEviPKiS4_PT2_S4_PiS4_S7_S7_d21rocsparse_index_base_imNS_24const_host_device_scalarIfEENS9_IdEENS9_IS5_EEb
                                        ; -- End function
	.set _ZN9rocsparseL12csrilu0_hashILj256ELj64ELj8E21rocsparse_complex_numIdEEEviPKiS4_PT2_S4_PiS4_S7_S7_d21rocsparse_index_base_imNS_24const_host_device_scalarIfEENS9_IdEENS9_IS5_EEb.num_vgpr, 38
	.set _ZN9rocsparseL12csrilu0_hashILj256ELj64ELj8E21rocsparse_complex_numIdEEEviPKiS4_PT2_S4_PiS4_S7_S7_d21rocsparse_index_base_imNS_24const_host_device_scalarIfEENS9_IdEENS9_IS5_EEb.num_agpr, 0
	.set _ZN9rocsparseL12csrilu0_hashILj256ELj64ELj8E21rocsparse_complex_numIdEEEviPKiS4_PT2_S4_PiS4_S7_S7_d21rocsparse_index_base_imNS_24const_host_device_scalarIfEENS9_IdEENS9_IS5_EEb.numbered_sgpr, 62
	.set _ZN9rocsparseL12csrilu0_hashILj256ELj64ELj8E21rocsparse_complex_numIdEEEviPKiS4_PT2_S4_PiS4_S7_S7_d21rocsparse_index_base_imNS_24const_host_device_scalarIfEENS9_IdEENS9_IS5_EEb.num_named_barrier, 0
	.set _ZN9rocsparseL12csrilu0_hashILj256ELj64ELj8E21rocsparse_complex_numIdEEEviPKiS4_PT2_S4_PiS4_S7_S7_d21rocsparse_index_base_imNS_24const_host_device_scalarIfEENS9_IdEENS9_IS5_EEb.private_seg_size, 16
	.set _ZN9rocsparseL12csrilu0_hashILj256ELj64ELj8E21rocsparse_complex_numIdEEEviPKiS4_PT2_S4_PiS4_S7_S7_d21rocsparse_index_base_imNS_24const_host_device_scalarIfEENS9_IdEENS9_IS5_EEb.uses_vcc, 1
	.set _ZN9rocsparseL12csrilu0_hashILj256ELj64ELj8E21rocsparse_complex_numIdEEEviPKiS4_PT2_S4_PiS4_S7_S7_d21rocsparse_index_base_imNS_24const_host_device_scalarIfEENS9_IdEENS9_IS5_EEb.uses_flat_scratch, 0
	.set _ZN9rocsparseL12csrilu0_hashILj256ELj64ELj8E21rocsparse_complex_numIdEEEviPKiS4_PT2_S4_PiS4_S7_S7_d21rocsparse_index_base_imNS_24const_host_device_scalarIfEENS9_IdEENS9_IS5_EEb.has_dyn_sized_stack, 0
	.set _ZN9rocsparseL12csrilu0_hashILj256ELj64ELj8E21rocsparse_complex_numIdEEEviPKiS4_PT2_S4_PiS4_S7_S7_d21rocsparse_index_base_imNS_24const_host_device_scalarIfEENS9_IdEENS9_IS5_EEb.has_recursion, 0
	.set _ZN9rocsparseL12csrilu0_hashILj256ELj64ELj8E21rocsparse_complex_numIdEEEviPKiS4_PT2_S4_PiS4_S7_S7_d21rocsparse_index_base_imNS_24const_host_device_scalarIfEENS9_IdEENS9_IS5_EEb.has_indirect_call, 0
	.section	.AMDGPU.csdata,"",@progbits
; Kernel info:
; codeLenInByte = 3180
; TotalNumSgprs: 68
; NumVgprs: 38
; NumAgprs: 0
; TotalNumVgprs: 38
; ScratchSize: 16
; MemoryBound: 0
; FloatMode: 240
; IeeeMode: 1
; LDSByteSize: 16384 bytes/workgroup (compile time only)
; SGPRBlocks: 8
; VGPRBlocks: 4
; NumSGPRsForWavesPerEU: 68
; NumVGPRsForWavesPerEU: 38
; AccumOffset: 40
; Occupancy: 8
; WaveLimiterHint : 1
; COMPUTE_PGM_RSRC2:SCRATCH_EN: 1
; COMPUTE_PGM_RSRC2:USER_SGPR: 2
; COMPUTE_PGM_RSRC2:TRAP_HANDLER: 0
; COMPUTE_PGM_RSRC2:TGID_X_EN: 1
; COMPUTE_PGM_RSRC2:TGID_Y_EN: 0
; COMPUTE_PGM_RSRC2:TGID_Z_EN: 0
; COMPUTE_PGM_RSRC2:TIDIG_COMP_CNT: 0
; COMPUTE_PGM_RSRC3_GFX90A:ACCUM_OFFSET: 9
; COMPUTE_PGM_RSRC3_GFX90A:TG_SPLIT: 0
	.section	.text._ZN9rocsparseL12csrilu0_hashILj256ELj64ELj16E21rocsparse_complex_numIdEEEviPKiS4_PT2_S4_PiS4_S7_S7_d21rocsparse_index_base_imNS_24const_host_device_scalarIfEENS9_IdEENS9_IS5_EEb,"axG",@progbits,_ZN9rocsparseL12csrilu0_hashILj256ELj64ELj16E21rocsparse_complex_numIdEEEviPKiS4_PT2_S4_PiS4_S7_S7_d21rocsparse_index_base_imNS_24const_host_device_scalarIfEENS9_IdEENS9_IS5_EEb,comdat
	.globl	_ZN9rocsparseL12csrilu0_hashILj256ELj64ELj16E21rocsparse_complex_numIdEEEviPKiS4_PT2_S4_PiS4_S7_S7_d21rocsparse_index_base_imNS_24const_host_device_scalarIfEENS9_IdEENS9_IS5_EEb ; -- Begin function _ZN9rocsparseL12csrilu0_hashILj256ELj64ELj16E21rocsparse_complex_numIdEEEviPKiS4_PT2_S4_PiS4_S7_S7_d21rocsparse_index_base_imNS_24const_host_device_scalarIfEENS9_IdEENS9_IS5_EEb
	.p2align	8
	.type	_ZN9rocsparseL12csrilu0_hashILj256ELj64ELj16E21rocsparse_complex_numIdEEEviPKiS4_PT2_S4_PiS4_S7_S7_d21rocsparse_index_base_imNS_24const_host_device_scalarIfEENS9_IdEENS9_IS5_EEb,@function
_ZN9rocsparseL12csrilu0_hashILj256ELj64ELj16E21rocsparse_complex_numIdEEEviPKiS4_PT2_S4_PiS4_S7_S7_d21rocsparse_index_base_imNS_24const_host_device_scalarIfEENS9_IdEENS9_IS5_EEb: ; @_ZN9rocsparseL12csrilu0_hashILj256ELj64ELj16E21rocsparse_complex_numIdEEEviPKiS4_PT2_S4_PiS4_S7_S7_d21rocsparse_index_base_imNS_24const_host_device_scalarIfEENS9_IdEENS9_IS5_EEb
; %bb.0:
	s_load_dword s3, s[0:1], 0x80
	s_load_dwordx8 s[24:31], s[0:1], 0x58
	s_load_dwordx2 s[4:5], s[0:1], 0x78
	s_load_dwordx2 s[34:35], s[0:1], 0x50
	s_waitcnt lgkmcnt(0)
	s_bitcmp1_b32 s3, 0
	s_cselect_b64 s[8:9], -1, 0
	v_mov_b64_e32 v[2:3], s[30:31]
	s_cmp_eq_u32 s35, 0
	s_cselect_b64 s[14:15], -1, 0
	s_cmp_lg_u32 s35, 0
	s_cselect_b64 s[10:11], -1, 0
	s_or_b64 s[16:17], s[14:15], s[8:9]
	s_xor_b64 s[6:7], s[16:17], -1
	s_and_b64 s[12:13], s[14:15], exec
	s_cselect_b32 s13, 0, s29
	s_cselect_b32 s12, 0, s28
	s_and_b64 vcc, exec, s[16:17]
	scratch_store_dwordx2 off, v[2:3], off
	s_cbranch_vccnz .LBB50_2
; %bb.1:
	s_load_dword s3, s[26:27], 0x0
	s_mov_b64 s[12:13], s[28:29]
	s_waitcnt lgkmcnt(0)
	v_mov_b32_e32 v23, s3
	s_andn2_b64 vcc, exec, s[6:7]
	v_mov_b64_e32 v[12:13], s[12:13]
	s_cbranch_vccz .LBB50_3
	s_branch .LBB50_4
.LBB50_2:
	v_mov_b32_e32 v1, s26
	v_cndmask_b32_e64 v23, v1, 0, s[14:15]
	s_andn2_b64 vcc, exec, s[6:7]
	v_mov_b64_e32 v[12:13], s[12:13]
	s_cbranch_vccnz .LBB50_4
.LBB50_3:
	v_mov_b64_e32 v[2:3], s[28:29]
	flat_load_dwordx2 v[12:13], v[2:3]
.LBB50_4:
	v_cndmask_b32_e64 v1, 0, 1, s[10:11]
	v_mov_b64_e32 v[28:29], 0
	v_cmp_ne_u32_e64 s[6:7], 1, v1
	s_andn2_b64 vcc, exec, s[10:11]
	v_mov_b64_e32 v[26:27], 0
	s_cbranch_vccnz .LBB50_7
; %bb.5:
	s_xor_b64 s[12:13], s[8:9], -1
	s_mov_b64 s[10:11], src_private_base
	s_and_b64 s[8:9], s[8:9], exec
	s_cselect_b32 s3, s11, s31
	s_cselect_b32 s8, 0, s30
	v_mov_b32_e32 v2, s8
	v_mov_b32_e32 v3, s3
	flat_load_dwordx2 v[26:27], v[2:3]
	s_andn2_b64 vcc, exec, s[12:13]
	v_mov_b64_e32 v[28:29], s[4:5]
	s_cbranch_vccnz .LBB50_7
; %bb.6:
	v_mov_b64_e32 v[2:3], s[30:31]
	flat_load_dwordx2 v[28:29], v[2:3] offset:8
.LBB50_7:
	v_and_b32_e32 v22, 63, v0
	v_lshrrev_b32_e32 v1, 6, v0
	v_lshlrev_b32_e32 v3, 12, v1
	v_lshlrev_b32_e32 v4, 2, v22
	s_movk_i32 s3, 0x4000
	v_or_b32_e32 v2, 0xffffffc0, v22
	v_or3_b32 v3, v3, v4, s3
	s_mov_b64 s[4:5], 0
	v_mov_b32_e32 v4, -1
	s_movk_i32 s3, 0x3bf
.LBB50_8:                               ; =>This Inner Loop Header: Depth=1
	v_add_u32_e32 v2, 64, v2
	v_cmp_lt_u32_e32 vcc, s3, v2
	ds_write_b32 v3, v4
	s_or_b64 s[4:5], vcc, s[4:5]
	v_add_u32_e32 v3, 0x100, v3
	s_andn2_b64 exec, exec, s[4:5]
	s_cbranch_execnz .LBB50_8
; %bb.9:
	s_or_b64 exec, exec, s[4:5]
	s_load_dword s3, s[0:1], 0x0
	s_lshl_b32 s2, s2, 2
	s_and_b32 s2, s2, 0x3fffffc
	v_or_b32_e32 v1, s2, v1
	s_waitcnt lgkmcnt(0)
	v_cmp_gt_i32_e32 vcc, s3, v1
	s_and_saveexec_b64 s[2:3], vcc
	s_cbranch_execz .LBB50_87
; %bb.10:
	s_load_dwordx16 s[8:23], s[0:1], 0x8
	v_lshlrev_b32_e32 v1, 2, v1
	v_lshlrev_b32_e32 v0, 6, v0
	v_and_b32_e32 v15, 0x3000, v0
	v_or_b32_e32 v24, 0x4000, v15
	s_waitcnt lgkmcnt(0)
	global_load_dword v10, v1, s[18:19]
	s_waitcnt vmcnt(0)
	v_ashrrev_i32_e32 v11, 31, v10
	v_lshlrev_b64 v[2:3], 2, v[10:11]
	v_lshl_add_u64 v[4:5], s[8:9], 0, v[2:3]
	global_load_dwordx2 v[4:5], v[4:5], off
	v_lshl_add_u64 v[2:3], s[14:15], 0, v[2:3]
	global_load_dword v14, v[2:3], off
	s_waitcnt vmcnt(1)
	v_subrev_u32_e32 v16, s34, v4
	v_subrev_u32_e32 v2, s34, v5
	v_add_u32_e32 v0, v16, v22
	v_cmp_lt_i32_e32 vcc, v0, v2
	s_and_saveexec_b64 s[2:3], vcc
	s_cbranch_execz .LBB50_33
; %bb.11:
	s_mov_b64 s[4:5], 0
	s_movk_i32 s33, 0x67
	v_mov_b32_e32 v3, -1
	s_branch .LBB50_13
.LBB50_12:                              ;   in Loop: Header=BB50_13 Depth=1
	s_or_b64 exec, exec, s[18:19]
	v_add_u32_e32 v0, 64, v0
	v_cmp_ge_i32_e32 vcc, v0, v2
	s_or_b64 s[4:5], vcc, s[4:5]
	s_andn2_b64 exec, exec, s[4:5]
	s_cbranch_execz .LBB50_33
.LBB50_13:                              ; =>This Loop Header: Depth=1
                                        ;     Child Loop BB50_22 Depth 2
	v_ashrrev_i32_e32 v1, 31, v0
	v_lshl_add_u64 v[4:5], v[0:1], 2, s[10:11]
	global_load_dword v1, v[4:5], off
	v_mov_b32_e32 v4, 0x400
	s_mov_b64 s[26:27], 0
                                        ; implicit-def: $sgpr18_sgpr19
                                        ; implicit-def: $sgpr28_sgpr29
                                        ; implicit-def: $sgpr30_sgpr31
	s_waitcnt vmcnt(0)
	v_mul_lo_u32 v6, v1, s33
	s_branch .LBB50_22
.LBB50_14:                              ;   in Loop: Header=BB50_22 Depth=2
	s_or_b64 exec, exec, s[54:55]
	s_orn2_b64 s[50:51], s[50:51], exec
	s_orn2_b64 s[52:53], s[52:53], exec
.LBB50_15:                              ;   in Loop: Header=BB50_22 Depth=2
	s_or_b64 exec, exec, s[48:49]
	s_and_b64 s[50:51], s[50:51], exec
	s_orn2_b64 s[48:49], s[52:53], exec
.LBB50_16:                              ;   in Loop: Header=BB50_22 Depth=2
	s_or_b64 exec, exec, s[46:47]
	s_orn2_b64 s[50:51], s[50:51], exec
	s_orn2_b64 s[46:47], s[48:49], exec
.LBB50_17:                              ;   in Loop: Header=BB50_22 Depth=2
	s_or_b64 exec, exec, s[44:45]
	s_and_b64 s[48:49], s[50:51], exec
	s_orn2_b64 s[44:45], s[46:47], exec
.LBB50_18:                              ;   in Loop: Header=BB50_22 Depth=2
	s_or_b64 exec, exec, s[42:43]
	s_orn2_b64 s[42:43], s[48:49], exec
	s_orn2_b64 s[44:45], s[44:45], exec
.LBB50_19:                              ;   in Loop: Header=BB50_22 Depth=2
	s_or_b64 exec, exec, s[40:41]
	s_and_b64 s[42:43], s[42:43], exec
	s_orn2_b64 s[40:41], s[44:45], exec
.LBB50_20:                              ;   in Loop: Header=BB50_22 Depth=2
	s_or_b64 exec, exec, s[38:39]
	s_andn2_b64 s[30:31], s[30:31], exec
	s_and_b64 s[38:39], s[42:43], exec
	s_or_b64 s[30:31], s[30:31], s[38:39]
	s_andn2_b64 s[28:29], s[28:29], exec
	s_and_b64 s[38:39], s[40:41], exec
	s_or_b64 s[28:29], s[28:29], s[38:39]
.LBB50_21:                              ;   in Loop: Header=BB50_22 Depth=2
	s_or_b64 exec, exec, s[36:37]
	s_and_b64 s[36:37], exec, s[28:29]
	s_or_b64 s[26:27], s[36:37], s[26:27]
	s_andn2_b64 s[18:19], s[18:19], exec
	s_and_b64 s[36:37], s[30:31], exec
	s_or_b64 s[18:19], s[18:19], s[36:37]
	s_andn2_b64 exec, exec, s[26:27]
	s_cbranch_execz .LBB50_31
.LBB50_22:                              ;   Parent Loop BB50_13 Depth=1
                                        ; =>  This Inner Loop Header: Depth=2
	v_and_b32_e32 v5, 0x3ff, v6
	v_lshl_add_u32 v7, v5, 2, v24
	ds_read_b32 v8, v7
	s_or_b64 s[30:31], s[30:31], exec
	s_or_b64 s[28:29], s[28:29], exec
	s_waitcnt lgkmcnt(0)
	v_cmp_ne_u32_e32 vcc, v8, v1
	s_and_saveexec_b64 s[36:37], vcc
	s_cbranch_execz .LBB50_21
; %bb.23:                               ;   in Loop: Header=BB50_22 Depth=2
	ds_cmpst_rtn_b32 v7, v7, v3, v1
	s_mov_b64 s[40:41], -1
	s_mov_b64 s[42:43], 0
	s_waitcnt lgkmcnt(0)
	v_cmp_ne_u32_e32 vcc, -1, v7
	s_and_saveexec_b64 s[38:39], vcc
	s_cbranch_execz .LBB50_20
; %bb.24:                               ;   in Loop: Header=BB50_22 Depth=2
	v_add_u32_e32 v5, 1, v6
	v_and_b32_e32 v5, 0x3ff, v5
	v_lshl_add_u32 v7, v5, 2, v24
	ds_read_b32 v8, v7
	s_mov_b64 s[44:45], -1
	s_mov_b64 s[42:43], -1
	s_waitcnt lgkmcnt(0)
	v_cmp_ne_u32_e32 vcc, v8, v1
	s_and_saveexec_b64 s[40:41], vcc
	s_cbranch_execz .LBB50_19
; %bb.25:                               ;   in Loop: Header=BB50_22 Depth=2
	ds_cmpst_rtn_b32 v7, v7, v3, v1
	s_mov_b64 s[48:49], 0
	s_waitcnt lgkmcnt(0)
	v_cmp_ne_u32_e32 vcc, -1, v7
	s_and_saveexec_b64 s[42:43], vcc
	s_cbranch_execz .LBB50_18
; %bb.26:                               ;   in Loop: Header=BB50_22 Depth=2
	v_add_u32_e32 v5, 2, v6
	v_and_b32_e32 v5, 0x3ff, v5
	v_lshl_add_u32 v7, v5, 2, v24
	ds_read_b32 v8, v7
	s_mov_b64 s[46:47], -1
	s_mov_b64 s[50:51], -1
	s_waitcnt lgkmcnt(0)
	v_cmp_ne_u32_e32 vcc, v8, v1
	s_and_saveexec_b64 s[44:45], vcc
	s_cbranch_execz .LBB50_17
; %bb.27:                               ;   in Loop: Header=BB50_22 Depth=2
	ds_cmpst_rtn_b32 v7, v7, v3, v1
	s_mov_b64 s[48:49], -1
	s_mov_b64 s[50:51], 0
	s_waitcnt lgkmcnt(0)
	v_cmp_ne_u32_e32 vcc, -1, v7
	s_and_saveexec_b64 s[46:47], vcc
	s_cbranch_execz .LBB50_16
; %bb.28:                               ;   in Loop: Header=BB50_22 Depth=2
	v_add_u32_e32 v5, 3, v6
	v_and_b32_e32 v5, 0x3ff, v5
	v_lshl_add_u32 v7, v5, 2, v24
	ds_read_b32 v6, v7
	s_mov_b64 s[52:53], -1
	s_mov_b64 s[50:51], -1
	s_waitcnt lgkmcnt(0)
	v_cmp_ne_u32_e32 vcc, v6, v1
                                        ; implicit-def: $vgpr6
	s_and_saveexec_b64 s[48:49], vcc
	s_cbranch_execz .LBB50_15
; %bb.29:                               ;   in Loop: Header=BB50_22 Depth=2
	ds_cmpst_rtn_b32 v6, v7, v3, v1
	s_mov_b64 s[50:51], 0
	s_waitcnt lgkmcnt(0)
	v_cmp_ne_u32_e32 vcc, -1, v6
                                        ; implicit-def: $vgpr6
	s_and_saveexec_b64 s[54:55], vcc
	s_cbranch_execz .LBB50_14
; %bb.30:                               ;   in Loop: Header=BB50_22 Depth=2
	v_add_u32_e32 v4, -4, v4
	v_cmp_eq_u32_e32 vcc, 0, v4
	s_mov_b64 s[50:51], exec
	v_add_u32_e32 v6, 1, v5
	s_orn2_b64 s[52:53], vcc, exec
	s_branch .LBB50_14
.LBB50_31:                              ;   in Loop: Header=BB50_13 Depth=1
	s_or_b64 exec, exec, s[26:27]
	s_xor_b64 s[18:19], s[18:19], -1
	s_and_saveexec_b64 s[26:27], s[18:19]
	s_xor_b64 s[18:19], exec, s[26:27]
	s_cbranch_execz .LBB50_12
; %bb.32:                               ;   in Loop: Header=BB50_13 Depth=1
	v_lshl_add_u32 v1, v5, 2, v15
	ds_write_b32 v1, v0
	s_branch .LBB50_12
.LBB50_33:
	s_or_b64 exec, exec, s[2:3]
	s_waitcnt vmcnt(0)
	v_cmp_lt_i32_e32 vcc, v16, v14
	s_waitcnt lgkmcnt(0)
	s_and_saveexec_b64 s[4:5], vcc
	s_cbranch_execz .LBB50_63
; %bb.34:
	v_add_u32_e32 v25, 1, v22
	s_mov_b64 s[18:19], 0
	s_movk_i32 s33, 0x67
	s_branch .LBB50_37
.LBB50_35:                              ;   in Loop: Header=BB50_37 Depth=1
	s_or_b64 exec, exec, s[26:27]
	v_add_u32_e32 v16, 1, v16
	v_cmp_ge_i32_e32 vcc, v16, v14
	s_orn2_b64 s[26:27], vcc, exec
.LBB50_36:                              ;   in Loop: Header=BB50_37 Depth=1
	s_or_b64 exec, exec, s[2:3]
	s_and_b64 s[2:3], exec, s[26:27]
	s_or_b64 s[18:19], s[2:3], s[18:19]
	s_andn2_b64 exec, exec, s[18:19]
	s_cbranch_execz .LBB50_63
.LBB50_37:                              ; =>This Loop Header: Depth=1
                                        ;     Child Loop BB50_38 Depth 2
                                        ;     Child Loop BB50_43 Depth 2
                                        ;       Child Loop BB50_52 Depth 3
	v_ashrrev_i32_e32 v17, 31, v16
	v_lshl_add_u64 v[0:1], v[16:17], 2, s[10:11]
	global_load_dword v0, v[0:1], off
	v_lshl_add_u64 v[18:19], v[16:17], 4, s[12:13]
	global_load_dwordx4 v[2:5], v[18:19], off
	s_mov_b64 s[2:3], 0
	s_waitcnt vmcnt(1)
	v_subrev_u32_e32 v0, s34, v0
	v_ashrrev_i32_e32 v1, 31, v0
	v_lshlrev_b64 v[0:1], 2, v[0:1]
	v_lshl_add_u64 v[8:9], s[8:9], 0, v[0:1]
	v_lshl_add_u64 v[20:21], s[14:15], 0, v[0:1]
	global_load_dword v7, v[8:9], off offset:4
	global_load_dword v6, v[20:21], off
	v_lshl_add_u64 v[0:1], s[16:17], 0, v[0:1]
.LBB50_38:                              ;   Parent Loop BB50_37 Depth=1
                                        ; =>  This Inner Loop Header: Depth=2
	global_load_dword v8, v[0:1], off sc1
	s_waitcnt vmcnt(0)
	v_cmp_ne_u32_e32 vcc, 0, v8
	s_or_b64 s[2:3], vcc, s[2:3]
	s_andn2_b64 exec, exec, s[2:3]
	s_cbranch_execnz .LBB50_38
; %bb.39:                               ;   in Loop: Header=BB50_37 Depth=1
	s_or_b64 exec, exec, s[2:3]
	v_subrev_u32_e32 v17, s34, v7
	v_add_u32_e32 v0, -1, v17
	v_cmp_eq_u32_e32 vcc, -1, v6
	buffer_inv sc1
	s_mov_b64 s[26:27], -1
	v_cndmask_b32_e32 v20, v6, v0, vcc
	v_ashrrev_i32_e32 v21, 31, v20
	v_lshl_add_u64 v[0:1], v[20:21], 4, s[12:13]
	global_load_dwordx4 v[6:9], v[0:1], off
	s_waitcnt vmcnt(0)
	v_cmp_neq_f64_e32 vcc, 0, v[6:7]
	v_cmp_neq_f64_e64 s[2:3], 0, v[8:9]
	s_or_b64 s[28:29], vcc, s[2:3]
	s_and_saveexec_b64 s[2:3], s[28:29]
	s_cbranch_execz .LBB50_36
; %bb.40:                               ;   in Loop: Header=BB50_37 Depth=1
	v_mul_f64 v[0:1], v[8:9], v[8:9]
	v_fmac_f64_e32 v[0:1], v[6:7], v[6:7]
	v_div_scale_f64 v[30:31], s[26:27], v[0:1], v[0:1], 1.0
	v_rcp_f64_e32 v[32:33], v[30:31]
	v_div_scale_f64 v[34:35], vcc, 1.0, v[0:1], 1.0
	v_fma_f64 v[36:37], -v[30:31], v[32:33], 1.0
	v_fmac_f64_e32 v[32:33], v[32:33], v[36:37]
	v_fma_f64 v[36:37], -v[30:31], v[32:33], 1.0
	v_fmac_f64_e32 v[32:33], v[32:33], v[36:37]
	v_mul_f64 v[36:37], v[34:35], v[32:33]
	v_fma_f64 v[30:31], -v[30:31], v[36:37], v[34:35]
	v_div_fmas_f64 v[30:31], v[30:31], v[32:33], v[36:37]
	v_div_fixup_f64 v[30:31], v[30:31], v[0:1], 1.0
	v_mul_f64 v[0:1], v[4:5], v[8:9]
	v_fmac_f64_e32 v[0:1], v[2:3], v[6:7]
	v_mul_f64 v[2:3], v[8:9], -v[2:3]
	v_fmac_f64_e32 v[2:3], v[4:5], v[6:7]
	v_add_u32_e32 v4, v25, v20
	v_mul_f64 v[0:1], v[0:1], v[30:31]
	v_mul_f64 v[2:3], v[2:3], v[30:31]
	v_cmp_lt_i32_e32 vcc, v4, v17
	global_store_dwordx4 v[18:19], v[0:3], off
	s_and_saveexec_b64 s[26:27], vcc
	s_cbranch_execz .LBB50_35
; %bb.41:                               ;   in Loop: Header=BB50_37 Depth=1
	s_mov_b64 s[28:29], 0
	s_branch .LBB50_43
.LBB50_42:                              ;   in Loop: Header=BB50_43 Depth=2
	s_or_b64 exec, exec, s[30:31]
	v_add_u32_e32 v4, 64, v4
	v_cmp_ge_i32_e32 vcc, v4, v17
	s_or_b64 s[28:29], vcc, s[28:29]
	s_andn2_b64 exec, exec, s[28:29]
	s_cbranch_execz .LBB50_35
.LBB50_43:                              ;   Parent Loop BB50_37 Depth=1
                                        ; =>  This Loop Header: Depth=2
                                        ;       Child Loop BB50_52 Depth 3
	v_ashrrev_i32_e32 v5, 31, v4
	v_lshl_add_u64 v[6:7], v[4:5], 2, s[10:11]
	global_load_dword v6, v[6:7], off
	v_mov_b32_e32 v7, 0x400
	s_mov_b64 s[36:37], 0
                                        ; implicit-def: $sgpr30_sgpr31
                                        ; implicit-def: $sgpr38_sgpr39
                                        ; implicit-def: $sgpr40_sgpr41
	s_waitcnt vmcnt(0)
	v_mul_lo_u32 v9, v6, s33
	s_branch .LBB50_52
.LBB50_44:                              ;   in Loop: Header=BB50_52 Depth=3
	s_or_b64 exec, exec, s[60:61]
	s_orn2_b64 s[56:57], s[56:57], exec
	s_orn2_b64 s[58:59], s[58:59], exec
.LBB50_45:                              ;   in Loop: Header=BB50_52 Depth=3
	s_or_b64 exec, exec, s[54:55]
	s_and_b64 s[56:57], s[56:57], exec
	s_orn2_b64 s[54:55], s[58:59], exec
.LBB50_46:                              ;   in Loop: Header=BB50_52 Depth=3
	s_or_b64 exec, exec, s[52:53]
	s_orn2_b64 s[56:57], s[56:57], exec
	s_orn2_b64 s[52:53], s[54:55], exec
.LBB50_47:                              ;   in Loop: Header=BB50_52 Depth=3
	s_or_b64 exec, exec, s[50:51]
	s_and_b64 s[54:55], s[56:57], exec
	s_orn2_b64 s[50:51], s[52:53], exec
.LBB50_48:                              ;   in Loop: Header=BB50_52 Depth=3
	s_or_b64 exec, exec, s[48:49]
	s_orn2_b64 s[48:49], s[54:55], exec
	s_orn2_b64 s[50:51], s[50:51], exec
.LBB50_49:                              ;   in Loop: Header=BB50_52 Depth=3
	s_or_b64 exec, exec, s[46:47]
	s_and_b64 s[48:49], s[48:49], exec
	s_orn2_b64 s[46:47], s[50:51], exec
.LBB50_50:                              ;   in Loop: Header=BB50_52 Depth=3
	s_or_b64 exec, exec, s[44:45]
	s_andn2_b64 s[40:41], s[40:41], exec
	s_and_b64 s[44:45], s[48:49], exec
	s_or_b64 s[40:41], s[40:41], s[44:45]
	s_andn2_b64 s[38:39], s[38:39], exec
	s_and_b64 s[44:45], s[46:47], exec
	s_or_b64 s[38:39], s[38:39], s[44:45]
.LBB50_51:                              ;   in Loop: Header=BB50_52 Depth=3
	s_or_b64 exec, exec, s[42:43]
	s_and_b64 s[42:43], exec, s[38:39]
	s_or_b64 s[36:37], s[42:43], s[36:37]
	s_andn2_b64 s[30:31], s[30:31], exec
	s_and_b64 s[42:43], s[40:41], exec
	s_or_b64 s[30:31], s[30:31], s[42:43]
	s_andn2_b64 exec, exec, s[36:37]
	s_cbranch_execz .LBB50_61
.LBB50_52:                              ;   Parent Loop BB50_37 Depth=1
                                        ;     Parent Loop BB50_43 Depth=2
                                        ; =>    This Inner Loop Header: Depth=3
	v_and_b32_e32 v8, 0x3ff, v9
	v_lshl_add_u32 v18, v8, 2, v24
	ds_read_b32 v18, v18
	s_or_b64 s[40:41], s[40:41], exec
	s_or_b64 s[38:39], s[38:39], exec
	s_waitcnt lgkmcnt(0)
	v_cmp_ne_u32_e32 vcc, -1, v18
	s_and_saveexec_b64 s[42:43], vcc
	s_cbranch_execz .LBB50_51
; %bb.53:                               ;   in Loop: Header=BB50_52 Depth=3
	v_cmp_ne_u32_e32 vcc, v18, v6
	s_mov_b64 s[46:47], -1
	s_mov_b64 s[48:49], 0
	s_and_saveexec_b64 s[44:45], vcc
	s_cbranch_execz .LBB50_50
; %bb.54:                               ;   in Loop: Header=BB50_52 Depth=3
	v_add_u32_e32 v8, 1, v9
	v_and_b32_e32 v8, 0x3ff, v8
	v_lshl_add_u32 v18, v8, 2, v24
	ds_read_b32 v18, v18
	s_mov_b64 s[50:51], -1
	s_mov_b64 s[48:49], -1
	s_waitcnt lgkmcnt(0)
	v_cmp_ne_u32_e32 vcc, -1, v18
	s_and_saveexec_b64 s[46:47], vcc
	s_cbranch_execz .LBB50_49
; %bb.55:                               ;   in Loop: Header=BB50_52 Depth=3
	v_cmp_ne_u32_e32 vcc, v18, v6
	s_mov_b64 s[54:55], 0
	s_and_saveexec_b64 s[48:49], vcc
	s_cbranch_execz .LBB50_48
; %bb.56:                               ;   in Loop: Header=BB50_52 Depth=3
	v_add_u32_e32 v8, 2, v9
	v_and_b32_e32 v8, 0x3ff, v8
	v_lshl_add_u32 v18, v8, 2, v24
	ds_read_b32 v18, v18
	s_mov_b64 s[52:53], -1
	s_mov_b64 s[56:57], -1
	s_waitcnt lgkmcnt(0)
	v_cmp_ne_u32_e32 vcc, -1, v18
	s_and_saveexec_b64 s[50:51], vcc
	s_cbranch_execz .LBB50_47
; %bb.57:                               ;   in Loop: Header=BB50_52 Depth=3
	v_cmp_ne_u32_e32 vcc, v18, v6
	s_mov_b64 s[54:55], -1
	s_mov_b64 s[56:57], 0
	s_and_saveexec_b64 s[52:53], vcc
	s_cbranch_execz .LBB50_46
; %bb.58:                               ;   in Loop: Header=BB50_52 Depth=3
	v_add_u32_e32 v8, 3, v9
	v_and_b32_e32 v8, 0x3ff, v8
	v_lshl_add_u32 v9, v8, 2, v24
	ds_read_b32 v18, v9
	s_mov_b64 s[58:59], -1
	s_mov_b64 s[56:57], -1
                                        ; implicit-def: $vgpr9
	s_waitcnt lgkmcnt(0)
	v_cmp_ne_u32_e32 vcc, -1, v18
	s_and_saveexec_b64 s[54:55], vcc
	s_cbranch_execz .LBB50_45
; %bb.59:                               ;   in Loop: Header=BB50_52 Depth=3
	v_cmp_ne_u32_e32 vcc, v18, v6
	s_mov_b64 s[56:57], 0
                                        ; implicit-def: $vgpr9
	s_and_saveexec_b64 s[60:61], vcc
	s_cbranch_execz .LBB50_44
; %bb.60:                               ;   in Loop: Header=BB50_52 Depth=3
	v_add_u32_e32 v7, -4, v7
	v_cmp_eq_u32_e32 vcc, 0, v7
	s_mov_b64 s[56:57], exec
	v_add_u32_e32 v9, 1, v8
	s_orn2_b64 s[58:59], vcc, exec
	s_branch .LBB50_44
.LBB50_61:                              ;   in Loop: Header=BB50_43 Depth=2
	s_or_b64 exec, exec, s[36:37]
	s_xor_b64 s[30:31], s[30:31], -1
	s_and_saveexec_b64 s[36:37], s[30:31]
	s_xor_b64 s[30:31], exec, s[36:37]
	s_cbranch_execz .LBB50_42
; %bb.62:                               ;   in Loop: Header=BB50_43 Depth=2
	v_lshl_add_u32 v6, v8, 2, v15
	ds_read_b32 v6, v6
	v_lshl_add_u64 v[30:31], v[4:5], 4, s[12:13]
	s_waitcnt lgkmcnt(0)
	v_ashrrev_i32_e32 v7, 31, v6
	v_lshl_add_u64 v[32:33], v[6:7], 4, s[12:13]
	global_load_dwordx4 v[6:9], v[30:31], off
	global_load_dwordx4 v[18:21], v[32:33], off
	s_waitcnt vmcnt(0)
	v_fma_f64 v[18:19], -v[0:1], v[6:7], v[18:19]
	v_fma_f64 v[6:7], -v[2:3], v[6:7], v[20:21]
	v_fmac_f64_e32 v[18:19], v[2:3], v[8:9]
	v_fma_f64 v[20:21], -v[0:1], v[8:9], v[6:7]
	global_store_dwordx4 v[32:33], v[18:21], off
	s_branch .LBB50_42
.LBB50_63:
	s_or_b64 exec, exec, s[4:5]
	v_cmp_lt_i32_e32 vcc, -1, v14
	s_and_saveexec_b64 s[2:3], vcc
	s_cbranch_execz .LBB50_85
; %bb.64:
	v_mov_b32_e32 v15, 0
	v_lshl_add_u64 v[4:5], v[14:15], 4, s[12:13]
	global_load_dwordx4 v[0:3], v[4:5], off
                                        ; implicit-def: $vgpr14_vgpr15
	s_waitcnt vmcnt(0)
	v_xor_b32_e32 v7, 0x80000000, v1
	v_cmp_gt_f64_e32 vcc, 0, v[0:1]
	v_xor_b32_e32 v8, 0x80000000, v3
	v_mov_b32_e32 v6, v0
	v_cndmask_b32_e32 v7, v1, v7, vcc
	v_cmp_gt_f64_e32 vcc, 0, v[2:3]
	s_nop 1
	v_cndmask_b32_e32 v9, v3, v8, vcc
	v_mov_b32_e32 v8, v2
	v_cmp_ngt_f64_e32 vcc, v[6:7], v[8:9]
	s_and_saveexec_b64 s[4:5], vcc
	s_xor_b64 s[4:5], exec, s[4:5]
	s_cbranch_execz .LBB50_68
; %bb.65:
	v_mov_b64_e32 v[14:15], 0
	v_cmp_neq_f64_e32 vcc, 0, v[2:3]
	s_and_saveexec_b64 s[8:9], vcc
	s_cbranch_execz .LBB50_67
; %bb.66:
	v_div_scale_f64 v[14:15], s[10:11], v[8:9], v[8:9], v[6:7]
	v_rcp_f64_e32 v[16:17], v[14:15]
	v_div_scale_f64 v[18:19], vcc, v[6:7], v[8:9], v[6:7]
	s_mov_b32 s10, 0
	v_fma_f64 v[20:21], -v[14:15], v[16:17], 1.0
	v_fmac_f64_e32 v[16:17], v[16:17], v[20:21]
	v_fma_f64 v[20:21], -v[14:15], v[16:17], 1.0
	v_fmac_f64_e32 v[16:17], v[16:17], v[20:21]
	v_mul_f64 v[20:21], v[18:19], v[16:17]
	v_fma_f64 v[14:15], -v[14:15], v[20:21], v[18:19]
	v_div_fmas_f64 v[14:15], v[14:15], v[16:17], v[20:21]
	v_div_fixup_f64 v[6:7], v[14:15], v[8:9], v[6:7]
	v_fma_f64 v[6:7], v[6:7], v[6:7], 1.0
	s_brev_b32 s11, 8
	v_mov_b32_e32 v14, 0x100
	v_cmp_gt_f64_e32 vcc, s[10:11], v[6:7]
	s_nop 1
	v_cndmask_b32_e32 v14, 0, v14, vcc
	v_ldexp_f64 v[6:7], v[6:7], v14
	v_rsq_f64_e32 v[14:15], v[6:7]
	s_nop 0
	v_mul_f64 v[16:17], v[6:7], v[14:15]
	v_mul_f64 v[14:15], v[14:15], 0.5
	v_fma_f64 v[18:19], -v[14:15], v[16:17], 0.5
	v_fmac_f64_e32 v[16:17], v[16:17], v[18:19]
	v_fma_f64 v[20:21], -v[16:17], v[16:17], v[6:7]
	v_fmac_f64_e32 v[14:15], v[14:15], v[18:19]
	v_fmac_f64_e32 v[16:17], v[20:21], v[14:15]
	v_fma_f64 v[18:19], -v[16:17], v[16:17], v[6:7]
	v_fmac_f64_e32 v[16:17], v[18:19], v[14:15]
	v_mov_b32_e32 v14, 0xffffff80
	v_cndmask_b32_e32 v14, 0, v14, vcc
	v_ldexp_f64 v[14:15], v[16:17], v14
	v_mov_b32_e32 v16, 0x260
	v_cmp_class_f64_e32 vcc, v[6:7], v16
	s_nop 1
	v_cndmask_b32_e32 v7, v15, v7, vcc
	v_cndmask_b32_e32 v6, v14, v6, vcc
	v_mul_f64 v[14:15], v[8:9], v[6:7]
.LBB50_67:
	s_or_b64 exec, exec, s[8:9]
                                        ; implicit-def: $vgpr6_vgpr7
                                        ; implicit-def: $vgpr8_vgpr9
.LBB50_68:
	s_andn2_saveexec_b64 s[4:5], s[4:5]
	s_cbranch_execz .LBB50_70
; %bb.69:
	v_div_scale_f64 v[14:15], s[8:9], v[6:7], v[6:7], v[8:9]
	v_rcp_f64_e32 v[16:17], v[14:15]
	v_div_scale_f64 v[18:19], vcc, v[8:9], v[6:7], v[8:9]
	s_mov_b32 s8, 0
	v_fma_f64 v[20:21], -v[14:15], v[16:17], 1.0
	v_fmac_f64_e32 v[16:17], v[16:17], v[20:21]
	v_fma_f64 v[20:21], -v[14:15], v[16:17], 1.0
	v_fmac_f64_e32 v[16:17], v[16:17], v[20:21]
	v_mul_f64 v[20:21], v[18:19], v[16:17]
	v_fma_f64 v[14:15], -v[14:15], v[20:21], v[18:19]
	v_div_fmas_f64 v[14:15], v[14:15], v[16:17], v[20:21]
	v_div_fixup_f64 v[8:9], v[14:15], v[6:7], v[8:9]
	v_fma_f64 v[8:9], v[8:9], v[8:9], 1.0
	s_brev_b32 s9, 8
	v_mov_b32_e32 v14, 0x100
	v_cmp_gt_f64_e32 vcc, s[8:9], v[8:9]
	s_nop 1
	v_cndmask_b32_e32 v14, 0, v14, vcc
	v_ldexp_f64 v[8:9], v[8:9], v14
	v_rsq_f64_e32 v[14:15], v[8:9]
	s_nop 0
	v_mul_f64 v[16:17], v[8:9], v[14:15]
	v_mul_f64 v[14:15], v[14:15], 0.5
	v_fma_f64 v[18:19], -v[14:15], v[16:17], 0.5
	v_fmac_f64_e32 v[16:17], v[16:17], v[18:19]
	v_fma_f64 v[20:21], -v[16:17], v[16:17], v[8:9]
	v_fmac_f64_e32 v[14:15], v[14:15], v[18:19]
	v_fmac_f64_e32 v[16:17], v[20:21], v[14:15]
	v_fma_f64 v[18:19], -v[16:17], v[16:17], v[8:9]
	v_fmac_f64_e32 v[16:17], v[18:19], v[14:15]
	v_mov_b32_e32 v14, 0xffffff80
	v_cndmask_b32_e32 v14, 0, v14, vcc
	v_ldexp_f64 v[14:15], v[16:17], v14
	v_mov_b32_e32 v16, 0x260
	v_cmp_class_f64_e32 vcc, v[8:9], v16
	s_nop 1
	v_cndmask_b32_e32 v9, v15, v9, vcc
	v_cndmask_b32_e32 v8, v14, v8, vcc
	v_mul_f64 v[14:15], v[6:7], v[8:9]
.LBB50_70:
	s_or_b64 exec, exec, s[4:5]
	v_cmp_eq_u32_e64 s[4:5], 0, v22
	s_and_b64 vcc, exec, s[6:7]
	s_mov_b64 s[6:7], -1
	s_cbranch_vccnz .LBB50_74
; %bb.71:
	s_cmp_eq_u64 s[24:25], 8
	v_cvt_f64_f32_e32 v[6:7], v23
	s_cselect_b64 vcc, -1, 0
	v_cndmask_b32_e32 v7, v7, v13, vcc
	v_cndmask_b32_e32 v6, v6, v12, vcc
	v_cmp_le_f64_e32 vcc, v[14:15], v[6:7]
	s_and_b64 s[8:9], s[4:5], vcc
	s_and_saveexec_b64 s[6:7], s[8:9]
	s_cbranch_execz .LBB50_73
; %bb.72:
	global_store_dwordx4 v[4:5], v[26:29], off
	buffer_wbl2 sc1
	s_waitcnt vmcnt(0)
	buffer_inv sc1
.LBB50_73:
	s_or_b64 exec, exec, s[6:7]
	s_mov_b64 s[6:7], 0
.LBB50_74:
	s_andn2_b64 vcc, exec, s[6:7]
	s_cbranch_vccnz .LBB50_85
; %bb.75:
	s_load_dwordx2 s[0:1], s[0:1], 0x48
	v_add_u32_e32 v4, s34, v10
	s_waitcnt lgkmcnt(0)
	v_cmp_ge_f64_e32 vcc, s[0:1], v[14:15]
	s_and_b64 s[6:7], s[4:5], vcc
	s_and_saveexec_b64 s[0:1], s[6:7]
	s_cbranch_execz .LBB50_80
; %bb.76:
	s_mov_b64 s[6:7], exec
	s_brev_b32 s8, -2
.LBB50_77:                              ; =>This Inner Loop Header: Depth=1
	s_ff1_i32_b64 s9, s[6:7]
	v_readlane_b32 s12, v4, s9
	s_lshl_b64 s[10:11], 1, s9
	s_min_i32 s8, s8, s12
	s_andn2_b64 s[6:7], s[6:7], s[10:11]
	s_cmp_lg_u64 s[6:7], 0
	s_cbranch_scc1 .LBB50_77
; %bb.78:
	v_mbcnt_lo_u32_b32 v5, exec_lo, 0
	v_mbcnt_hi_u32_b32 v5, exec_hi, v5
	v_cmp_eq_u32_e32 vcc, 0, v5
	s_and_saveexec_b64 s[6:7], vcc
	s_xor_b64 s[6:7], exec, s[6:7]
	s_cbranch_execz .LBB50_80
; %bb.79:
	v_mov_b32_e32 v5, 0
	v_mov_b32_e32 v6, s8
	global_atomic_smin v5, v6, s[22:23]
.LBB50_80:
	s_or_b64 exec, exec, s[0:1]
	v_cmp_eq_f64_e32 vcc, 0, v[0:1]
	v_cmp_eq_f64_e64 s[0:1], 0, v[2:3]
	s_and_b64 s[0:1], vcc, s[0:1]
	s_and_b64 s[0:1], s[4:5], s[0:1]
	s_and_b64 exec, exec, s[0:1]
	s_cbranch_execz .LBB50_85
; %bb.81:
	s_mov_b64 s[0:1], exec
	s_brev_b32 s4, -2
.LBB50_82:                              ; =>This Inner Loop Header: Depth=1
	s_ff1_i32_b64 s5, s[0:1]
	v_readlane_b32 s8, v4, s5
	s_lshl_b64 s[6:7], 1, s5
	s_min_i32 s4, s4, s8
	s_andn2_b64 s[0:1], s[0:1], s[6:7]
	s_cmp_lg_u64 s[0:1], 0
	s_cbranch_scc1 .LBB50_82
; %bb.83:
	v_mbcnt_lo_u32_b32 v0, exec_lo, 0
	v_mbcnt_hi_u32_b32 v0, exec_hi, v0
	v_cmp_eq_u32_e32 vcc, 0, v0
	s_and_saveexec_b64 s[0:1], vcc
	s_xor_b64 s[0:1], exec, s[0:1]
	s_cbranch_execz .LBB50_85
; %bb.84:
	v_mov_b32_e32 v0, 0
	v_mov_b32_e32 v1, s4
	global_atomic_smin v0, v1, s[20:21]
.LBB50_85:
	s_or_b64 exec, exec, s[2:3]
	v_cmp_eq_u32_e32 vcc, 0, v22
	buffer_wbl2 sc1
	s_waitcnt vmcnt(0)
	buffer_inv sc1
	s_and_b64 exec, exec, vcc
	s_cbranch_execz .LBB50_87
; %bb.86:
	v_lshl_add_u64 v[0:1], v[10:11], 2, s[16:17]
	v_mov_b32_e32 v2, 1
	buffer_wbl2 sc1
	global_store_dword v[0:1], v2, off sc1
.LBB50_87:
	s_endpgm
	.section	.rodata,"a",@progbits
	.p2align	6, 0x0
	.amdhsa_kernel _ZN9rocsparseL12csrilu0_hashILj256ELj64ELj16E21rocsparse_complex_numIdEEEviPKiS4_PT2_S4_PiS4_S7_S7_d21rocsparse_index_base_imNS_24const_host_device_scalarIfEENS9_IdEENS9_IS5_EEb
		.amdhsa_group_segment_fixed_size 32768
		.amdhsa_private_segment_fixed_size 16
		.amdhsa_kernarg_size 132
		.amdhsa_user_sgpr_count 2
		.amdhsa_user_sgpr_dispatch_ptr 0
		.amdhsa_user_sgpr_queue_ptr 0
		.amdhsa_user_sgpr_kernarg_segment_ptr 1
		.amdhsa_user_sgpr_dispatch_id 0
		.amdhsa_user_sgpr_kernarg_preload_length 0
		.amdhsa_user_sgpr_kernarg_preload_offset 0
		.amdhsa_user_sgpr_private_segment_size 0
		.amdhsa_uses_dynamic_stack 0
		.amdhsa_enable_private_segment 1
		.amdhsa_system_sgpr_workgroup_id_x 1
		.amdhsa_system_sgpr_workgroup_id_y 0
		.amdhsa_system_sgpr_workgroup_id_z 0
		.amdhsa_system_sgpr_workgroup_info 0
		.amdhsa_system_vgpr_workitem_id 0
		.amdhsa_next_free_vgpr 81
		.amdhsa_next_free_sgpr 96
		.amdhsa_accum_offset 40
		.amdhsa_reserve_vcc 1
		.amdhsa_float_round_mode_32 0
		.amdhsa_float_round_mode_16_64 0
		.amdhsa_float_denorm_mode_32 3
		.amdhsa_float_denorm_mode_16_64 3
		.amdhsa_dx10_clamp 1
		.amdhsa_ieee_mode 1
		.amdhsa_fp16_overflow 0
		.amdhsa_tg_split 0
		.amdhsa_exception_fp_ieee_invalid_op 0
		.amdhsa_exception_fp_denorm_src 0
		.amdhsa_exception_fp_ieee_div_zero 0
		.amdhsa_exception_fp_ieee_overflow 0
		.amdhsa_exception_fp_ieee_underflow 0
		.amdhsa_exception_fp_ieee_inexact 0
		.amdhsa_exception_int_div_zero 0
	.end_amdhsa_kernel
	.section	.text._ZN9rocsparseL12csrilu0_hashILj256ELj64ELj16E21rocsparse_complex_numIdEEEviPKiS4_PT2_S4_PiS4_S7_S7_d21rocsparse_index_base_imNS_24const_host_device_scalarIfEENS9_IdEENS9_IS5_EEb,"axG",@progbits,_ZN9rocsparseL12csrilu0_hashILj256ELj64ELj16E21rocsparse_complex_numIdEEEviPKiS4_PT2_S4_PiS4_S7_S7_d21rocsparse_index_base_imNS_24const_host_device_scalarIfEENS9_IdEENS9_IS5_EEb,comdat
.Lfunc_end50:
	.size	_ZN9rocsparseL12csrilu0_hashILj256ELj64ELj16E21rocsparse_complex_numIdEEEviPKiS4_PT2_S4_PiS4_S7_S7_d21rocsparse_index_base_imNS_24const_host_device_scalarIfEENS9_IdEENS9_IS5_EEb, .Lfunc_end50-_ZN9rocsparseL12csrilu0_hashILj256ELj64ELj16E21rocsparse_complex_numIdEEEviPKiS4_PT2_S4_PiS4_S7_S7_d21rocsparse_index_base_imNS_24const_host_device_scalarIfEENS9_IdEENS9_IS5_EEb
                                        ; -- End function
	.set _ZN9rocsparseL12csrilu0_hashILj256ELj64ELj16E21rocsparse_complex_numIdEEEviPKiS4_PT2_S4_PiS4_S7_S7_d21rocsparse_index_base_imNS_24const_host_device_scalarIfEENS9_IdEENS9_IS5_EEb.num_vgpr, 38
	.set _ZN9rocsparseL12csrilu0_hashILj256ELj64ELj16E21rocsparse_complex_numIdEEEviPKiS4_PT2_S4_PiS4_S7_S7_d21rocsparse_index_base_imNS_24const_host_device_scalarIfEENS9_IdEENS9_IS5_EEb.num_agpr, 0
	.set _ZN9rocsparseL12csrilu0_hashILj256ELj64ELj16E21rocsparse_complex_numIdEEEviPKiS4_PT2_S4_PiS4_S7_S7_d21rocsparse_index_base_imNS_24const_host_device_scalarIfEENS9_IdEENS9_IS5_EEb.numbered_sgpr, 62
	.set _ZN9rocsparseL12csrilu0_hashILj256ELj64ELj16E21rocsparse_complex_numIdEEEviPKiS4_PT2_S4_PiS4_S7_S7_d21rocsparse_index_base_imNS_24const_host_device_scalarIfEENS9_IdEENS9_IS5_EEb.num_named_barrier, 0
	.set _ZN9rocsparseL12csrilu0_hashILj256ELj64ELj16E21rocsparse_complex_numIdEEEviPKiS4_PT2_S4_PiS4_S7_S7_d21rocsparse_index_base_imNS_24const_host_device_scalarIfEENS9_IdEENS9_IS5_EEb.private_seg_size, 16
	.set _ZN9rocsparseL12csrilu0_hashILj256ELj64ELj16E21rocsparse_complex_numIdEEEviPKiS4_PT2_S4_PiS4_S7_S7_d21rocsparse_index_base_imNS_24const_host_device_scalarIfEENS9_IdEENS9_IS5_EEb.uses_vcc, 1
	.set _ZN9rocsparseL12csrilu0_hashILj256ELj64ELj16E21rocsparse_complex_numIdEEEviPKiS4_PT2_S4_PiS4_S7_S7_d21rocsparse_index_base_imNS_24const_host_device_scalarIfEENS9_IdEENS9_IS5_EEb.uses_flat_scratch, 0
	.set _ZN9rocsparseL12csrilu0_hashILj256ELj64ELj16E21rocsparse_complex_numIdEEEviPKiS4_PT2_S4_PiS4_S7_S7_d21rocsparse_index_base_imNS_24const_host_device_scalarIfEENS9_IdEENS9_IS5_EEb.has_dyn_sized_stack, 0
	.set _ZN9rocsparseL12csrilu0_hashILj256ELj64ELj16E21rocsparse_complex_numIdEEEviPKiS4_PT2_S4_PiS4_S7_S7_d21rocsparse_index_base_imNS_24const_host_device_scalarIfEENS9_IdEENS9_IS5_EEb.has_recursion, 0
	.set _ZN9rocsparseL12csrilu0_hashILj256ELj64ELj16E21rocsparse_complex_numIdEEEviPKiS4_PT2_S4_PiS4_S7_S7_d21rocsparse_index_base_imNS_24const_host_device_scalarIfEENS9_IdEENS9_IS5_EEb.has_indirect_call, 0
	.section	.AMDGPU.csdata,"",@progbits
; Kernel info:
; codeLenInByte = 3200
; TotalNumSgprs: 68
; NumVgprs: 38
; NumAgprs: 0
; TotalNumVgprs: 38
; ScratchSize: 16
; MemoryBound: 0
; FloatMode: 240
; IeeeMode: 1
; LDSByteSize: 32768 bytes/workgroup (compile time only)
; SGPRBlocks: 12
; VGPRBlocks: 10
; NumSGPRsForWavesPerEU: 102
; NumVGPRsForWavesPerEU: 81
; AccumOffset: 40
; Occupancy: 5
; WaveLimiterHint : 1
; COMPUTE_PGM_RSRC2:SCRATCH_EN: 1
; COMPUTE_PGM_RSRC2:USER_SGPR: 2
; COMPUTE_PGM_RSRC2:TRAP_HANDLER: 0
; COMPUTE_PGM_RSRC2:TGID_X_EN: 1
; COMPUTE_PGM_RSRC2:TGID_Y_EN: 0
; COMPUTE_PGM_RSRC2:TGID_Z_EN: 0
; COMPUTE_PGM_RSRC2:TIDIG_COMP_CNT: 0
; COMPUTE_PGM_RSRC3_GFX90A:ACCUM_OFFSET: 9
; COMPUTE_PGM_RSRC3_GFX90A:TG_SPLIT: 0
	.section	.text._ZN9rocsparseL17csrilu0_binsearchILj256ELj64ELb0E21rocsparse_complex_numIdEEEviPKiS4_PT2_S4_PiS4_S7_S7_d21rocsparse_index_base_imNS_24const_host_device_scalarIfEENS9_IdEENS9_IS5_EEb,"axG",@progbits,_ZN9rocsparseL17csrilu0_binsearchILj256ELj64ELb0E21rocsparse_complex_numIdEEEviPKiS4_PT2_S4_PiS4_S7_S7_d21rocsparse_index_base_imNS_24const_host_device_scalarIfEENS9_IdEENS9_IS5_EEb,comdat
	.globl	_ZN9rocsparseL17csrilu0_binsearchILj256ELj64ELb0E21rocsparse_complex_numIdEEEviPKiS4_PT2_S4_PiS4_S7_S7_d21rocsparse_index_base_imNS_24const_host_device_scalarIfEENS9_IdEENS9_IS5_EEb ; -- Begin function _ZN9rocsparseL17csrilu0_binsearchILj256ELj64ELb0E21rocsparse_complex_numIdEEEviPKiS4_PT2_S4_PiS4_S7_S7_d21rocsparse_index_base_imNS_24const_host_device_scalarIfEENS9_IdEENS9_IS5_EEb
	.p2align	8
	.type	_ZN9rocsparseL17csrilu0_binsearchILj256ELj64ELb0E21rocsparse_complex_numIdEEEviPKiS4_PT2_S4_PiS4_S7_S7_d21rocsparse_index_base_imNS_24const_host_device_scalarIfEENS9_IdEENS9_IS5_EEb,@function
_ZN9rocsparseL17csrilu0_binsearchILj256ELj64ELb0E21rocsparse_complex_numIdEEEviPKiS4_PT2_S4_PiS4_S7_S7_d21rocsparse_index_base_imNS_24const_host_device_scalarIfEENS9_IdEENS9_IS5_EEb: ; @_ZN9rocsparseL17csrilu0_binsearchILj256ELj64ELb0E21rocsparse_complex_numIdEEEviPKiS4_PT2_S4_PiS4_S7_S7_d21rocsparse_index_base_imNS_24const_host_device_scalarIfEENS9_IdEENS9_IS5_EEb
; %bb.0:
	s_load_dword s3, s[0:1], 0x80
	s_load_dwordx8 s[24:31], s[0:1], 0x58
	s_load_dwordx2 s[4:5], s[0:1], 0x78
	s_load_dwordx2 s[34:35], s[0:1], 0x50
	s_waitcnt lgkmcnt(0)
	s_bitcmp1_b32 s3, 0
	s_cselect_b64 s[8:9], -1, 0
	v_mov_b64_e32 v[2:3], s[30:31]
	s_cmp_eq_u32 s35, 0
	s_cselect_b64 s[14:15], -1, 0
	s_cmp_lg_u32 s35, 0
	s_cselect_b64 s[10:11], -1, 0
	s_or_b64 s[16:17], s[14:15], s[8:9]
	s_xor_b64 s[6:7], s[16:17], -1
	s_and_b64 s[12:13], s[14:15], exec
	s_cselect_b32 s13, 0, s29
	s_cselect_b32 s12, 0, s28
	s_and_b64 vcc, exec, s[16:17]
	scratch_store_dwordx2 off, v[2:3], off
	s_cbranch_vccnz .LBB51_2
; %bb.1:
	s_load_dword s3, s[26:27], 0x0
	s_mov_b64 s[12:13], s[28:29]
	s_waitcnt lgkmcnt(0)
	v_mov_b32_e32 v23, s3
	s_andn2_b64 vcc, exec, s[6:7]
	v_mov_b64_e32 v[12:13], s[12:13]
	s_cbranch_vccz .LBB51_3
	s_branch .LBB51_4
.LBB51_2:
	v_mov_b32_e32 v1, s26
	v_cndmask_b32_e64 v23, v1, 0, s[14:15]
	s_andn2_b64 vcc, exec, s[6:7]
	v_mov_b64_e32 v[12:13], s[12:13]
	s_cbranch_vccnz .LBB51_4
.LBB51_3:
	v_mov_b64_e32 v[2:3], s[28:29]
	flat_load_dwordx2 v[12:13], v[2:3]
.LBB51_4:
	v_cndmask_b32_e64 v1, 0, 1, s[10:11]
	v_mov_b64_e32 v[26:27], 0
	v_cmp_ne_u32_e64 s[6:7], 1, v1
	s_andn2_b64 vcc, exec, s[10:11]
	v_mov_b64_e32 v[28:29], 0
	s_cbranch_vccnz .LBB51_7
; %bb.5:
	s_xor_b64 s[12:13], s[8:9], -1
	s_mov_b64 s[10:11], src_private_base
	s_and_b64 s[8:9], s[8:9], exec
	s_cselect_b32 s3, s11, s31
	s_cselect_b32 s8, 0, s30
	v_mov_b32_e32 v2, s8
	v_mov_b32_e32 v3, s3
	flat_load_dwordx2 v[26:27], v[2:3]
	s_andn2_b64 vcc, exec, s[12:13]
	v_mov_b64_e32 v[28:29], s[4:5]
	s_cbranch_vccnz .LBB51_7
; %bb.6:
	v_mov_b64_e32 v[2:3], s[30:31]
	flat_load_dwordx2 v[28:29], v[2:3] offset:8
.LBB51_7:
	s_load_dword s3, s[0:1], 0x0
	s_lshl_b32 s2, s2, 2
	v_lshrrev_b32_e32 v1, 6, v0
	s_and_b32 s2, s2, 0x3fffffc
	v_or_b32_e32 v1, s2, v1
	s_waitcnt lgkmcnt(0)
	v_cmp_gt_i32_e32 vcc, s3, v1
	s_and_saveexec_b64 s[2:3], vcc
	s_cbranch_execz .LBB51_49
; %bb.8:
	s_load_dwordx16 s[8:23], s[0:1], 0x8
	v_lshlrev_b32_e32 v1, 2, v1
	v_and_b32_e32 v22, 63, v0
	s_waitcnt lgkmcnt(0)
	global_load_dword v10, v1, s[18:19]
	s_waitcnt vmcnt(0)
	v_ashrrev_i32_e32 v11, 31, v10
	v_lshlrev_b64 v[2:3], 2, v[10:11]
	v_lshl_add_u64 v[4:5], s[14:15], 0, v[2:3]
	v_lshl_add_u64 v[2:3], s[8:9], 0, v[2:3]
	global_load_dword v1, v[2:3], off
	global_load_dword v14, v[4:5], off
	s_waitcnt vmcnt(1)
	v_subrev_u32_e32 v16, s34, v1
	s_waitcnt vmcnt(0)
	v_cmp_lt_i32_e32 vcc, v16, v14
	s_and_saveexec_b64 s[4:5], vcc
	s_cbranch_execz .LBB51_25
; %bb.9:
	global_load_dword v0, v[2:3], off offset:4
	v_add_u32_e32 v15, 1, v22
	s_mov_b64 s[18:19], 0
	s_waitcnt vmcnt(0)
	v_xad_u32 v24, s34, -1, v0
	s_branch .LBB51_12
.LBB51_10:                              ;   in Loop: Header=BB51_12 Depth=1
	s_or_b64 exec, exec, s[26:27]
	v_cmp_ge_i32_e32 vcc, v16, v14
	s_orn2_b64 s[26:27], vcc, exec
.LBB51_11:                              ;   in Loop: Header=BB51_12 Depth=1
	s_or_b64 exec, exec, s[2:3]
	s_and_b64 s[2:3], exec, s[26:27]
	s_or_b64 s[18:19], s[2:3], s[18:19]
	s_andn2_b64 exec, exec, s[18:19]
	s_cbranch_execz .LBB51_25
.LBB51_12:                              ; =>This Loop Header: Depth=1
                                        ;     Child Loop BB51_14 Depth 2
                                        ;     Child Loop BB51_19 Depth 2
                                        ;       Child Loop BB51_21 Depth 3
	v_ashrrev_i32_e32 v17, 31, v16
	v_lshl_add_u64 v[0:1], v[16:17], 2, s[10:11]
	global_load_dword v0, v[0:1], off
	v_lshl_add_u64 v[18:19], v[16:17], 4, s[12:13]
	global_load_dwordx4 v[2:5], v[18:19], off
	s_waitcnt vmcnt(1)
	v_subrev_u32_e32 v0, s34, v0
	v_ashrrev_i32_e32 v1, 31, v0
	v_lshlrev_b64 v[0:1], 2, v[0:1]
	v_lshl_add_u64 v[8:9], s[8:9], 0, v[0:1]
	v_lshl_add_u64 v[20:21], s[14:15], 0, v[0:1]
	;; [unrolled: 1-line block ×3, first 2 shown]
	global_load_dword v7, v[8:9], off offset:4
	global_load_dword v6, v[20:21], off
	global_load_dword v17, v[0:1], off sc1
	s_waitcnt vmcnt(0)
	v_cmp_eq_u32_e32 vcc, 0, v17
	s_and_saveexec_b64 s[2:3], vcc
	s_cbranch_execz .LBB51_15
; %bb.13:                               ;   in Loop: Header=BB51_12 Depth=1
	s_mov_b64 s[26:27], 0
.LBB51_14:                              ;   Parent Loop BB51_12 Depth=1
                                        ; =>  This Inner Loop Header: Depth=2
	global_load_dword v8, v[0:1], off sc1
	s_waitcnt vmcnt(0)
	v_cmp_ne_u32_e32 vcc, 0, v8
	s_or_b64 s[26:27], vcc, s[26:27]
	s_andn2_b64 exec, exec, s[26:27]
	s_cbranch_execnz .LBB51_14
.LBB51_15:                              ;   in Loop: Header=BB51_12 Depth=1
	s_or_b64 exec, exec, s[2:3]
	v_subrev_u32_e32 v17, s34, v7
	v_add_u32_e32 v0, -1, v17
	v_cmp_eq_u32_e32 vcc, -1, v6
	buffer_inv sc1
	s_mov_b64 s[26:27], -1
	v_cndmask_b32_e32 v20, v6, v0, vcc
	v_ashrrev_i32_e32 v21, 31, v20
	v_lshl_add_u64 v[0:1], v[20:21], 4, s[12:13]
	global_load_dwordx4 v[6:9], v[0:1], off
	s_waitcnt vmcnt(0)
	v_cmp_neq_f64_e32 vcc, 0, v[6:7]
	v_cmp_neq_f64_e64 s[2:3], 0, v[8:9]
	s_or_b64 s[2:3], vcc, s[2:3]
	s_and_saveexec_b64 s[28:29], s[2:3]
	s_xor_b64 s[2:3], exec, s[28:29]
	s_cbranch_execz .LBB51_11
; %bb.16:                               ;   in Loop: Header=BB51_12 Depth=1
	v_mul_f64 v[0:1], v[8:9], v[8:9]
	v_fmac_f64_e32 v[0:1], v[6:7], v[6:7]
	v_div_scale_f64 v[30:31], s[26:27], v[0:1], v[0:1], 1.0
	v_rcp_f64_e32 v[32:33], v[30:31]
	v_div_scale_f64 v[34:35], vcc, 1.0, v[0:1], 1.0
	v_add_u32_e32 v16, 1, v16
	v_fma_f64 v[36:37], -v[30:31], v[32:33], 1.0
	v_fmac_f64_e32 v[32:33], v[32:33], v[36:37]
	v_fma_f64 v[36:37], -v[30:31], v[32:33], 1.0
	v_fmac_f64_e32 v[32:33], v[32:33], v[36:37]
	v_mul_f64 v[36:37], v[34:35], v[32:33]
	v_fma_f64 v[30:31], -v[30:31], v[36:37], v[34:35]
	v_div_fmas_f64 v[30:31], v[30:31], v[32:33], v[36:37]
	v_div_fixup_f64 v[30:31], v[30:31], v[0:1], 1.0
	v_mul_f64 v[0:1], v[4:5], v[8:9]
	v_fmac_f64_e32 v[0:1], v[2:3], v[6:7]
	v_mul_f64 v[2:3], v[8:9], -v[2:3]
	v_fmac_f64_e32 v[2:3], v[4:5], v[6:7]
	v_add_u32_e32 v4, v15, v20
	v_mul_f64 v[0:1], v[0:1], v[30:31]
	v_mul_f64 v[2:3], v[2:3], v[30:31]
	v_cmp_lt_i32_e32 vcc, v4, v17
	global_store_dwordx4 v[18:19], v[0:3], off
	s_and_saveexec_b64 s[26:27], vcc
	s_cbranch_execz .LBB51_10
; %bb.17:                               ;   in Loop: Header=BB51_12 Depth=1
	s_mov_b64 s[28:29], 0
	v_mov_b32_e32 v6, v16
	s_branch .LBB51_19
.LBB51_18:                              ;   in Loop: Header=BB51_19 Depth=2
	s_or_b64 exec, exec, s[30:31]
	v_add_u32_e32 v4, 64, v4
	v_cmp_ge_i32_e32 vcc, v4, v17
	s_or_b64 s[28:29], vcc, s[28:29]
	s_andn2_b64 exec, exec, s[28:29]
	s_cbranch_execz .LBB51_10
.LBB51_19:                              ;   Parent Loop BB51_12 Depth=1
                                        ; =>  This Loop Header: Depth=2
                                        ;       Child Loop BB51_21 Depth 3
	v_add_u32_e32 v7, v6, v24
	v_ashrrev_i32_e32 v5, 31, v4
	v_ashrrev_i32_e32 v8, 1, v7
	v_lshl_add_u64 v[18:19], v[4:5], 2, s[10:11]
	v_ashrrev_i32_e32 v9, 31, v8
	v_lshl_add_u64 v[20:21], v[8:9], 2, s[10:11]
	global_load_dword v7, v[18:19], off
	global_load_dword v9, v[20:21], off
	v_cmp_lt_i32_e32 vcc, v6, v24
	s_and_saveexec_b64 s[30:31], vcc
	s_cbranch_execz .LBB51_23
; %bb.20:                               ;   in Loop: Header=BB51_19 Depth=2
	s_mov_b64 s[36:37], 0
	v_mov_b32_e32 v18, v24
.LBB51_21:                              ;   Parent Loop BB51_12 Depth=1
                                        ;     Parent Loop BB51_19 Depth=2
                                        ; =>    This Inner Loop Header: Depth=3
	v_add_u32_e32 v19, 1, v8
	s_waitcnt vmcnt(0)
	v_cmp_lt_i32_e32 vcc, v9, v7
	s_nop 1
	v_cndmask_b32_e32 v18, v8, v18, vcc
	v_cndmask_b32_e32 v6, v6, v19, vcc
	v_add_u32_e32 v8, v18, v6
	v_ashrrev_i32_e32 v8, 1, v8
	v_ashrrev_i32_e32 v9, 31, v8
	v_lshl_add_u64 v[20:21], v[8:9], 2, s[10:11]
	global_load_dword v9, v[20:21], off
	v_cmp_ge_i32_e32 vcc, v6, v18
	s_or_b64 s[36:37], vcc, s[36:37]
	s_andn2_b64 exec, exec, s[36:37]
	s_cbranch_execnz .LBB51_21
; %bb.22:                               ;   in Loop: Header=BB51_19 Depth=2
	s_or_b64 exec, exec, s[36:37]
.LBB51_23:                              ;   in Loop: Header=BB51_19 Depth=2
	s_or_b64 exec, exec, s[30:31]
	s_waitcnt vmcnt(0)
	v_cmp_eq_u32_e32 vcc, v9, v7
	s_and_saveexec_b64 s[30:31], vcc
	s_cbranch_execz .LBB51_18
; %bb.24:                               ;   in Loop: Header=BB51_19 Depth=2
	v_lshl_add_u64 v[8:9], v[4:5], 4, s[12:13]
	v_ashrrev_i32_e32 v7, 31, v6
	v_lshl_add_u64 v[34:35], v[6:7], 4, s[12:13]
	global_load_dwordx4 v[18:21], v[8:9], off
	global_load_dwordx4 v[30:33], v[34:35], off
	s_waitcnt vmcnt(0)
	v_fma_f64 v[30:31], -v[0:1], v[18:19], v[30:31]
	v_fma_f64 v[8:9], -v[2:3], v[18:19], v[32:33]
	v_fmac_f64_e32 v[30:31], v[2:3], v[20:21]
	v_fma_f64 v[32:33], -v[0:1], v[20:21], v[8:9]
	global_store_dwordx4 v[34:35], v[30:33], off
	s_branch .LBB51_18
.LBB51_25:
	s_or_b64 exec, exec, s[4:5]
	v_cmp_lt_i32_e32 vcc, -1, v14
	s_and_saveexec_b64 s[2:3], vcc
	s_cbranch_execz .LBB51_47
; %bb.26:
	v_mov_b32_e32 v15, 0
	v_lshl_add_u64 v[4:5], v[14:15], 4, s[12:13]
	global_load_dwordx4 v[0:3], v[4:5], off
                                        ; implicit-def: $vgpr14_vgpr15
	s_waitcnt vmcnt(0)
	v_xor_b32_e32 v7, 0x80000000, v1
	v_cmp_gt_f64_e32 vcc, 0, v[0:1]
	v_xor_b32_e32 v8, 0x80000000, v3
	v_mov_b32_e32 v6, v0
	v_cndmask_b32_e32 v7, v1, v7, vcc
	v_cmp_gt_f64_e32 vcc, 0, v[2:3]
	s_nop 1
	v_cndmask_b32_e32 v9, v3, v8, vcc
	v_mov_b32_e32 v8, v2
	v_cmp_ngt_f64_e32 vcc, v[6:7], v[8:9]
	s_and_saveexec_b64 s[4:5], vcc
	s_xor_b64 s[4:5], exec, s[4:5]
	s_cbranch_execz .LBB51_30
; %bb.27:
	v_mov_b64_e32 v[14:15], 0
	v_cmp_neq_f64_e32 vcc, 0, v[2:3]
	s_and_saveexec_b64 s[8:9], vcc
	s_cbranch_execz .LBB51_29
; %bb.28:
	v_div_scale_f64 v[14:15], s[10:11], v[8:9], v[8:9], v[6:7]
	v_rcp_f64_e32 v[16:17], v[14:15]
	v_div_scale_f64 v[18:19], vcc, v[6:7], v[8:9], v[6:7]
	s_mov_b32 s10, 0
	v_fma_f64 v[20:21], -v[14:15], v[16:17], 1.0
	v_fmac_f64_e32 v[16:17], v[16:17], v[20:21]
	v_fma_f64 v[20:21], -v[14:15], v[16:17], 1.0
	v_fmac_f64_e32 v[16:17], v[16:17], v[20:21]
	v_mul_f64 v[20:21], v[18:19], v[16:17]
	v_fma_f64 v[14:15], -v[14:15], v[20:21], v[18:19]
	v_div_fmas_f64 v[14:15], v[14:15], v[16:17], v[20:21]
	v_div_fixup_f64 v[6:7], v[14:15], v[8:9], v[6:7]
	v_fma_f64 v[6:7], v[6:7], v[6:7], 1.0
	s_brev_b32 s11, 8
	v_mov_b32_e32 v14, 0x100
	v_cmp_gt_f64_e32 vcc, s[10:11], v[6:7]
	s_nop 1
	v_cndmask_b32_e32 v14, 0, v14, vcc
	v_ldexp_f64 v[6:7], v[6:7], v14
	v_rsq_f64_e32 v[14:15], v[6:7]
	s_nop 0
	v_mul_f64 v[16:17], v[6:7], v[14:15]
	v_mul_f64 v[14:15], v[14:15], 0.5
	v_fma_f64 v[18:19], -v[14:15], v[16:17], 0.5
	v_fmac_f64_e32 v[16:17], v[16:17], v[18:19]
	v_fma_f64 v[20:21], -v[16:17], v[16:17], v[6:7]
	v_fmac_f64_e32 v[14:15], v[14:15], v[18:19]
	v_fmac_f64_e32 v[16:17], v[20:21], v[14:15]
	v_fma_f64 v[18:19], -v[16:17], v[16:17], v[6:7]
	v_fmac_f64_e32 v[16:17], v[18:19], v[14:15]
	v_mov_b32_e32 v14, 0xffffff80
	v_cndmask_b32_e32 v14, 0, v14, vcc
	v_ldexp_f64 v[14:15], v[16:17], v14
	v_mov_b32_e32 v16, 0x260
	v_cmp_class_f64_e32 vcc, v[6:7], v16
	s_nop 1
	v_cndmask_b32_e32 v7, v15, v7, vcc
	v_cndmask_b32_e32 v6, v14, v6, vcc
	v_mul_f64 v[14:15], v[8:9], v[6:7]
.LBB51_29:
	s_or_b64 exec, exec, s[8:9]
                                        ; implicit-def: $vgpr6_vgpr7
                                        ; implicit-def: $vgpr8_vgpr9
.LBB51_30:
	s_andn2_saveexec_b64 s[4:5], s[4:5]
	s_cbranch_execz .LBB51_32
; %bb.31:
	v_div_scale_f64 v[14:15], s[8:9], v[6:7], v[6:7], v[8:9]
	v_rcp_f64_e32 v[16:17], v[14:15]
	v_div_scale_f64 v[18:19], vcc, v[8:9], v[6:7], v[8:9]
	s_mov_b32 s8, 0
	v_fma_f64 v[20:21], -v[14:15], v[16:17], 1.0
	v_fmac_f64_e32 v[16:17], v[16:17], v[20:21]
	v_fma_f64 v[20:21], -v[14:15], v[16:17], 1.0
	v_fmac_f64_e32 v[16:17], v[16:17], v[20:21]
	v_mul_f64 v[20:21], v[18:19], v[16:17]
	v_fma_f64 v[14:15], -v[14:15], v[20:21], v[18:19]
	v_div_fmas_f64 v[14:15], v[14:15], v[16:17], v[20:21]
	v_div_fixup_f64 v[8:9], v[14:15], v[6:7], v[8:9]
	v_fma_f64 v[8:9], v[8:9], v[8:9], 1.0
	s_brev_b32 s9, 8
	v_mov_b32_e32 v14, 0x100
	v_cmp_gt_f64_e32 vcc, s[8:9], v[8:9]
	s_nop 1
	v_cndmask_b32_e32 v14, 0, v14, vcc
	v_ldexp_f64 v[8:9], v[8:9], v14
	v_rsq_f64_e32 v[14:15], v[8:9]
	s_nop 0
	v_mul_f64 v[16:17], v[8:9], v[14:15]
	v_mul_f64 v[14:15], v[14:15], 0.5
	v_fma_f64 v[18:19], -v[14:15], v[16:17], 0.5
	v_fmac_f64_e32 v[16:17], v[16:17], v[18:19]
	v_fma_f64 v[20:21], -v[16:17], v[16:17], v[8:9]
	v_fmac_f64_e32 v[14:15], v[14:15], v[18:19]
	v_fmac_f64_e32 v[16:17], v[20:21], v[14:15]
	v_fma_f64 v[18:19], -v[16:17], v[16:17], v[8:9]
	v_fmac_f64_e32 v[16:17], v[18:19], v[14:15]
	v_mov_b32_e32 v14, 0xffffff80
	v_cndmask_b32_e32 v14, 0, v14, vcc
	v_ldexp_f64 v[14:15], v[16:17], v14
	v_mov_b32_e32 v16, 0x260
	v_cmp_class_f64_e32 vcc, v[8:9], v16
	s_nop 1
	v_cndmask_b32_e32 v9, v15, v9, vcc
	v_cndmask_b32_e32 v8, v14, v8, vcc
	v_mul_f64 v[14:15], v[6:7], v[8:9]
.LBB51_32:
	s_or_b64 exec, exec, s[4:5]
	v_cmp_eq_u32_e64 s[4:5], 0, v22
	s_and_b64 vcc, exec, s[6:7]
	s_mov_b64 s[6:7], -1
	s_cbranch_vccnz .LBB51_36
; %bb.33:
	s_cmp_eq_u64 s[24:25], 8
	v_cvt_f64_f32_e32 v[6:7], v23
	s_cselect_b64 vcc, -1, 0
	v_cndmask_b32_e32 v7, v7, v13, vcc
	v_cndmask_b32_e32 v6, v6, v12, vcc
	v_cmp_le_f64_e32 vcc, v[14:15], v[6:7]
	s_and_b64 s[8:9], s[4:5], vcc
	s_and_saveexec_b64 s[6:7], s[8:9]
	s_cbranch_execz .LBB51_35
; %bb.34:
	global_store_dwordx4 v[4:5], v[26:29], off
.LBB51_35:
	s_or_b64 exec, exec, s[6:7]
	s_mov_b64 s[6:7], 0
.LBB51_36:
	s_andn2_b64 vcc, exec, s[6:7]
	s_cbranch_vccnz .LBB51_47
; %bb.37:
	s_load_dwordx2 s[0:1], s[0:1], 0x48
	v_add_u32_e32 v4, s34, v10
	s_waitcnt lgkmcnt(0)
	v_cmp_ge_f64_e32 vcc, s[0:1], v[14:15]
	s_and_b64 s[6:7], s[4:5], vcc
	s_and_saveexec_b64 s[0:1], s[6:7]
	s_cbranch_execz .LBB51_42
; %bb.38:
	s_mov_b64 s[6:7], exec
	s_brev_b32 s8, -2
.LBB51_39:                              ; =>This Inner Loop Header: Depth=1
	s_ff1_i32_b64 s9, s[6:7]
	v_readlane_b32 s12, v4, s9
	s_lshl_b64 s[10:11], 1, s9
	s_min_i32 s8, s8, s12
	s_andn2_b64 s[6:7], s[6:7], s[10:11]
	s_cmp_lg_u64 s[6:7], 0
	s_cbranch_scc1 .LBB51_39
; %bb.40:
	v_mbcnt_lo_u32_b32 v5, exec_lo, 0
	v_mbcnt_hi_u32_b32 v5, exec_hi, v5
	v_cmp_eq_u32_e32 vcc, 0, v5
	s_and_saveexec_b64 s[6:7], vcc
	s_xor_b64 s[6:7], exec, s[6:7]
	s_cbranch_execz .LBB51_42
; %bb.41:
	v_mov_b32_e32 v5, 0
	v_mov_b32_e32 v6, s8
	global_atomic_smin v5, v6, s[22:23]
.LBB51_42:
	s_or_b64 exec, exec, s[0:1]
	v_cmp_eq_f64_e32 vcc, 0, v[0:1]
	v_cmp_eq_f64_e64 s[0:1], 0, v[2:3]
	s_and_b64 s[0:1], vcc, s[0:1]
	s_and_b64 s[0:1], s[4:5], s[0:1]
	s_and_b64 exec, exec, s[0:1]
	s_cbranch_execz .LBB51_47
; %bb.43:
	s_mov_b64 s[0:1], exec
	s_brev_b32 s4, -2
.LBB51_44:                              ; =>This Inner Loop Header: Depth=1
	s_ff1_i32_b64 s5, s[0:1]
	v_readlane_b32 s8, v4, s5
	s_lshl_b64 s[6:7], 1, s5
	s_min_i32 s4, s4, s8
	s_andn2_b64 s[0:1], s[0:1], s[6:7]
	s_cmp_lg_u64 s[0:1], 0
	s_cbranch_scc1 .LBB51_44
; %bb.45:
	v_mbcnt_lo_u32_b32 v0, exec_lo, 0
	v_mbcnt_hi_u32_b32 v0, exec_hi, v0
	v_cmp_eq_u32_e32 vcc, 0, v0
	s_and_saveexec_b64 s[0:1], vcc
	s_xor_b64 s[0:1], exec, s[0:1]
	s_cbranch_execz .LBB51_47
; %bb.46:
	v_mov_b32_e32 v0, 0
	v_mov_b32_e32 v1, s4
	global_atomic_smin v0, v1, s[20:21]
.LBB51_47:
	s_or_b64 exec, exec, s[2:3]
	v_cmp_eq_u32_e32 vcc, 0, v22
	buffer_wbl2 sc1
	s_waitcnt vmcnt(0)
	buffer_inv sc1
	s_and_b64 exec, exec, vcc
	s_cbranch_execz .LBB51_49
; %bb.48:
	v_lshl_add_u64 v[0:1], v[10:11], 2, s[16:17]
	v_mov_b32_e32 v2, 1
	buffer_wbl2 sc1
	global_store_dword v[0:1], v2, off sc1
.LBB51_49:
	s_endpgm
	.section	.rodata,"a",@progbits
	.p2align	6, 0x0
	.amdhsa_kernel _ZN9rocsparseL17csrilu0_binsearchILj256ELj64ELb0E21rocsparse_complex_numIdEEEviPKiS4_PT2_S4_PiS4_S7_S7_d21rocsparse_index_base_imNS_24const_host_device_scalarIfEENS9_IdEENS9_IS5_EEb
		.amdhsa_group_segment_fixed_size 0
		.amdhsa_private_segment_fixed_size 16
		.amdhsa_kernarg_size 132
		.amdhsa_user_sgpr_count 2
		.amdhsa_user_sgpr_dispatch_ptr 0
		.amdhsa_user_sgpr_queue_ptr 0
		.amdhsa_user_sgpr_kernarg_segment_ptr 1
		.amdhsa_user_sgpr_dispatch_id 0
		.amdhsa_user_sgpr_kernarg_preload_length 0
		.amdhsa_user_sgpr_kernarg_preload_offset 0
		.amdhsa_user_sgpr_private_segment_size 0
		.amdhsa_uses_dynamic_stack 0
		.amdhsa_enable_private_segment 1
		.amdhsa_system_sgpr_workgroup_id_x 1
		.amdhsa_system_sgpr_workgroup_id_y 0
		.amdhsa_system_sgpr_workgroup_id_z 0
		.amdhsa_system_sgpr_workgroup_info 0
		.amdhsa_system_vgpr_workitem_id 0
		.amdhsa_next_free_vgpr 38
		.amdhsa_next_free_sgpr 38
		.amdhsa_accum_offset 40
		.amdhsa_reserve_vcc 1
		.amdhsa_float_round_mode_32 0
		.amdhsa_float_round_mode_16_64 0
		.amdhsa_float_denorm_mode_32 3
		.amdhsa_float_denorm_mode_16_64 3
		.amdhsa_dx10_clamp 1
		.amdhsa_ieee_mode 1
		.amdhsa_fp16_overflow 0
		.amdhsa_tg_split 0
		.amdhsa_exception_fp_ieee_invalid_op 0
		.amdhsa_exception_fp_denorm_src 0
		.amdhsa_exception_fp_ieee_div_zero 0
		.amdhsa_exception_fp_ieee_overflow 0
		.amdhsa_exception_fp_ieee_underflow 0
		.amdhsa_exception_fp_ieee_inexact 0
		.amdhsa_exception_int_div_zero 0
	.end_amdhsa_kernel
	.section	.text._ZN9rocsparseL17csrilu0_binsearchILj256ELj64ELb0E21rocsparse_complex_numIdEEEviPKiS4_PT2_S4_PiS4_S7_S7_d21rocsparse_index_base_imNS_24const_host_device_scalarIfEENS9_IdEENS9_IS5_EEb,"axG",@progbits,_ZN9rocsparseL17csrilu0_binsearchILj256ELj64ELb0E21rocsparse_complex_numIdEEEviPKiS4_PT2_S4_PiS4_S7_S7_d21rocsparse_index_base_imNS_24const_host_device_scalarIfEENS9_IdEENS9_IS5_EEb,comdat
.Lfunc_end51:
	.size	_ZN9rocsparseL17csrilu0_binsearchILj256ELj64ELb0E21rocsparse_complex_numIdEEEviPKiS4_PT2_S4_PiS4_S7_S7_d21rocsparse_index_base_imNS_24const_host_device_scalarIfEENS9_IdEENS9_IS5_EEb, .Lfunc_end51-_ZN9rocsparseL17csrilu0_binsearchILj256ELj64ELb0E21rocsparse_complex_numIdEEEviPKiS4_PT2_S4_PiS4_S7_S7_d21rocsparse_index_base_imNS_24const_host_device_scalarIfEENS9_IdEENS9_IS5_EEb
                                        ; -- End function
	.set _ZN9rocsparseL17csrilu0_binsearchILj256ELj64ELb0E21rocsparse_complex_numIdEEEviPKiS4_PT2_S4_PiS4_S7_S7_d21rocsparse_index_base_imNS_24const_host_device_scalarIfEENS9_IdEENS9_IS5_EEb.num_vgpr, 38
	.set _ZN9rocsparseL17csrilu0_binsearchILj256ELj64ELb0E21rocsparse_complex_numIdEEEviPKiS4_PT2_S4_PiS4_S7_S7_d21rocsparse_index_base_imNS_24const_host_device_scalarIfEENS9_IdEENS9_IS5_EEb.num_agpr, 0
	.set _ZN9rocsparseL17csrilu0_binsearchILj256ELj64ELb0E21rocsparse_complex_numIdEEEviPKiS4_PT2_S4_PiS4_S7_S7_d21rocsparse_index_base_imNS_24const_host_device_scalarIfEENS9_IdEENS9_IS5_EEb.numbered_sgpr, 38
	.set _ZN9rocsparseL17csrilu0_binsearchILj256ELj64ELb0E21rocsparse_complex_numIdEEEviPKiS4_PT2_S4_PiS4_S7_S7_d21rocsparse_index_base_imNS_24const_host_device_scalarIfEENS9_IdEENS9_IS5_EEb.num_named_barrier, 0
	.set _ZN9rocsparseL17csrilu0_binsearchILj256ELj64ELb0E21rocsparse_complex_numIdEEEviPKiS4_PT2_S4_PiS4_S7_S7_d21rocsparse_index_base_imNS_24const_host_device_scalarIfEENS9_IdEENS9_IS5_EEb.private_seg_size, 16
	.set _ZN9rocsparseL17csrilu0_binsearchILj256ELj64ELb0E21rocsparse_complex_numIdEEEviPKiS4_PT2_S4_PiS4_S7_S7_d21rocsparse_index_base_imNS_24const_host_device_scalarIfEENS9_IdEENS9_IS5_EEb.uses_vcc, 1
	.set _ZN9rocsparseL17csrilu0_binsearchILj256ELj64ELb0E21rocsparse_complex_numIdEEEviPKiS4_PT2_S4_PiS4_S7_S7_d21rocsparse_index_base_imNS_24const_host_device_scalarIfEENS9_IdEENS9_IS5_EEb.uses_flat_scratch, 0
	.set _ZN9rocsparseL17csrilu0_binsearchILj256ELj64ELb0E21rocsparse_complex_numIdEEEviPKiS4_PT2_S4_PiS4_S7_S7_d21rocsparse_index_base_imNS_24const_host_device_scalarIfEENS9_IdEENS9_IS5_EEb.has_dyn_sized_stack, 0
	.set _ZN9rocsparseL17csrilu0_binsearchILj256ELj64ELb0E21rocsparse_complex_numIdEEEviPKiS4_PT2_S4_PiS4_S7_S7_d21rocsparse_index_base_imNS_24const_host_device_scalarIfEENS9_IdEENS9_IS5_EEb.has_recursion, 0
	.set _ZN9rocsparseL17csrilu0_binsearchILj256ELj64ELb0E21rocsparse_complex_numIdEEEviPKiS4_PT2_S4_PiS4_S7_S7_d21rocsparse_index_base_imNS_24const_host_device_scalarIfEENS9_IdEENS9_IS5_EEb.has_indirect_call, 0
	.section	.AMDGPU.csdata,"",@progbits
; Kernel info:
; codeLenInByte = 2132
; TotalNumSgprs: 44
; NumVgprs: 38
; NumAgprs: 0
; TotalNumVgprs: 38
; ScratchSize: 16
; MemoryBound: 0
; FloatMode: 240
; IeeeMode: 1
; LDSByteSize: 0 bytes/workgroup (compile time only)
; SGPRBlocks: 5
; VGPRBlocks: 4
; NumSGPRsForWavesPerEU: 44
; NumVGPRsForWavesPerEU: 38
; AccumOffset: 40
; Occupancy: 8
; WaveLimiterHint : 1
; COMPUTE_PGM_RSRC2:SCRATCH_EN: 1
; COMPUTE_PGM_RSRC2:USER_SGPR: 2
; COMPUTE_PGM_RSRC2:TRAP_HANDLER: 0
; COMPUTE_PGM_RSRC2:TGID_X_EN: 1
; COMPUTE_PGM_RSRC2:TGID_Y_EN: 0
; COMPUTE_PGM_RSRC2:TGID_Z_EN: 0
; COMPUTE_PGM_RSRC2:TIDIG_COMP_CNT: 0
; COMPUTE_PGM_RSRC3_GFX90A:ACCUM_OFFSET: 9
; COMPUTE_PGM_RSRC3_GFX90A:TG_SPLIT: 0
	.section	.AMDGPU.gpr_maximums,"",@progbits
	.set amdgpu.max_num_vgpr, 0
	.set amdgpu.max_num_agpr, 0
	.set amdgpu.max_num_sgpr, 0
	.section	.AMDGPU.csdata,"",@progbits
	.type	__hip_cuid_d128969f95dee2a6,@object ; @__hip_cuid_d128969f95dee2a6
	.section	.bss,"aw",@nobits
	.globl	__hip_cuid_d128969f95dee2a6
__hip_cuid_d128969f95dee2a6:
	.byte	0                               ; 0x0
	.size	__hip_cuid_d128969f95dee2a6, 1

	.ident	"AMD clang version 22.0.0git (https://github.com/RadeonOpenCompute/llvm-project roc-7.2.4 26084 f58b06dce1f9c15707c5f808fd002e18c2accf7e)"
	.section	".note.GNU-stack","",@progbits
	.addrsig
	.addrsig_sym __hip_cuid_d128969f95dee2a6
	.amdgpu_metadata
---
amdhsa.kernels:
  - .agpr_count:     0
    .args:
      - .offset:         0
        .size:           4
        .value_kind:     by_value
      - .address_space:  global
        .offset:         8
        .size:           8
        .value_kind:     global_buffer
      - .address_space:  global
        .offset:         16
        .size:           8
        .value_kind:     global_buffer
      - .address_space:  global
        .offset:         24
        .size:           8
        .value_kind:     global_buffer
      - .address_space:  global
        .offset:         32
        .size:           8
        .value_kind:     global_buffer
      - .address_space:  global
        .offset:         40
        .size:           8
        .value_kind:     global_buffer
      - .address_space:  global
        .offset:         48
        .size:           8
        .value_kind:     global_buffer
      - .address_space:  global
        .offset:         56
        .size:           8
        .value_kind:     global_buffer
      - .address_space:  global
        .offset:         64
        .size:           8
        .value_kind:     global_buffer
      - .offset:         72
        .size:           8
        .value_kind:     by_value
      - .offset:         80
        .size:           4
        .value_kind:     by_value
      - .offset:         84
        .size:           4
        .value_kind:     by_value
      - .offset:         88
        .size:           8
        .value_kind:     by_value
      - .offset:         96
        .size:           8
        .value_kind:     by_value
      - .offset:         104
        .size:           8
        .value_kind:     by_value
      - .offset:         112
        .size:           8
        .value_kind:     by_value
      - .offset:         120
        .size:           1
        .value_kind:     by_value
    .group_segment_fixed_size: 0
    .kernarg_segment_align: 8
    .kernarg_segment_size: 124
    .language:       OpenCL C
    .language_version:
      - 2
      - 0
    .max_flat_workgroup_size: 256
    .name:           _ZN9rocsparseL17csrilu0_binsearchILj256ELj64ELb1EfEEviPKiS2_PT2_S2_PiS2_S5_S5_d21rocsparse_index_base_imNS_24const_host_device_scalarIfEENS7_IdEENS7_IS3_EEb
    .private_segment_fixed_size: 0
    .sgpr_count:     44
    .sgpr_spill_count: 0
    .symbol:         _ZN9rocsparseL17csrilu0_binsearchILj256ELj64ELb1EfEEviPKiS2_PT2_S2_PiS2_S5_S5_d21rocsparse_index_base_imNS_24const_host_device_scalarIfEENS7_IdEENS7_IS3_EEb.kd
    .uniform_work_group_size: 1
    .uses_dynamic_stack: false
    .vgpr_count:     24
    .vgpr_spill_count: 0
    .wavefront_size: 64
  - .agpr_count:     0
    .args:
      - .offset:         0
        .size:           4
        .value_kind:     by_value
      - .address_space:  global
        .offset:         8
        .size:           8
        .value_kind:     global_buffer
      - .address_space:  global
        .offset:         16
        .size:           8
        .value_kind:     global_buffer
      - .address_space:  global
        .offset:         24
        .size:           8
        .value_kind:     global_buffer
      - .address_space:  global
        .offset:         32
        .size:           8
        .value_kind:     global_buffer
      - .address_space:  global
        .offset:         40
        .size:           8
        .value_kind:     global_buffer
      - .address_space:  global
        .offset:         48
        .size:           8
        .value_kind:     global_buffer
      - .address_space:  global
        .offset:         56
        .size:           8
        .value_kind:     global_buffer
      - .address_space:  global
        .offset:         64
        .size:           8
        .value_kind:     global_buffer
      - .offset:         72
        .size:           8
        .value_kind:     by_value
      - .offset:         80
        .size:           4
        .value_kind:     by_value
      - .offset:         84
        .size:           4
        .value_kind:     by_value
      - .offset:         88
        .size:           8
        .value_kind:     by_value
      - .offset:         96
        .size:           8
        .value_kind:     by_value
      - .offset:         104
        .size:           8
        .value_kind:     by_value
      - .offset:         112
        .size:           8
        .value_kind:     by_value
      - .offset:         120
        .size:           1
        .value_kind:     by_value
    .group_segment_fixed_size: 2048
    .kernarg_segment_align: 8
    .kernarg_segment_size: 124
    .language:       OpenCL C
    .language_version:
      - 2
      - 0
    .max_flat_workgroup_size: 256
    .name:           _ZN9rocsparseL12csrilu0_hashILj256ELj32ELj1EfEEviPKiS2_PT2_S2_PiS2_S5_S5_d21rocsparse_index_base_imNS_24const_host_device_scalarIfEENS7_IdEENS7_IS3_EEb
    .private_segment_fixed_size: 0
    .sgpr_count:     68
    .sgpr_spill_count: 0
    .symbol:         _ZN9rocsparseL12csrilu0_hashILj256ELj32ELj1EfEEviPKiS2_PT2_S2_PiS2_S5_S5_d21rocsparse_index_base_imNS_24const_host_device_scalarIfEENS7_IdEENS7_IS3_EEb.kd
    .uniform_work_group_size: 1
    .uses_dynamic_stack: false
    .vgpr_count:     24
    .vgpr_spill_count: 0
    .wavefront_size: 64
  - .agpr_count:     0
    .args:
      - .offset:         0
        .size:           4
        .value_kind:     by_value
      - .address_space:  global
        .offset:         8
        .size:           8
        .value_kind:     global_buffer
      - .address_space:  global
        .offset:         16
        .size:           8
        .value_kind:     global_buffer
      - .address_space:  global
        .offset:         24
        .size:           8
        .value_kind:     global_buffer
      - .address_space:  global
        .offset:         32
        .size:           8
        .value_kind:     global_buffer
      - .address_space:  global
        .offset:         40
        .size:           8
        .value_kind:     global_buffer
      - .address_space:  global
        .offset:         48
        .size:           8
        .value_kind:     global_buffer
      - .address_space:  global
        .offset:         56
        .size:           8
        .value_kind:     global_buffer
      - .address_space:  global
        .offset:         64
        .size:           8
        .value_kind:     global_buffer
      - .offset:         72
        .size:           8
        .value_kind:     by_value
      - .offset:         80
        .size:           4
        .value_kind:     by_value
      - .offset:         84
        .size:           4
        .value_kind:     by_value
      - .offset:         88
        .size:           8
        .value_kind:     by_value
      - .offset:         96
        .size:           8
        .value_kind:     by_value
      - .offset:         104
        .size:           8
        .value_kind:     by_value
      - .offset:         112
        .size:           8
        .value_kind:     by_value
      - .offset:         120
        .size:           1
        .value_kind:     by_value
    .group_segment_fixed_size: 4096
    .kernarg_segment_align: 8
    .kernarg_segment_size: 124
    .language:       OpenCL C
    .language_version:
      - 2
      - 0
    .max_flat_workgroup_size: 256
    .name:           _ZN9rocsparseL12csrilu0_hashILj256ELj32ELj2EfEEviPKiS2_PT2_S2_PiS2_S5_S5_d21rocsparse_index_base_imNS_24const_host_device_scalarIfEENS7_IdEENS7_IS3_EEb
    .private_segment_fixed_size: 0
    .sgpr_count:     68
    .sgpr_spill_count: 0
    .symbol:         _ZN9rocsparseL12csrilu0_hashILj256ELj32ELj2EfEEviPKiS2_PT2_S2_PiS2_S5_S5_d21rocsparse_index_base_imNS_24const_host_device_scalarIfEENS7_IdEENS7_IS3_EEb.kd
    .uniform_work_group_size: 1
    .uses_dynamic_stack: false
    .vgpr_count:     24
    .vgpr_spill_count: 0
    .wavefront_size: 64
  - .agpr_count:     0
    .args:
      - .offset:         0
        .size:           4
        .value_kind:     by_value
      - .address_space:  global
        .offset:         8
        .size:           8
        .value_kind:     global_buffer
      - .address_space:  global
        .offset:         16
        .size:           8
        .value_kind:     global_buffer
      - .address_space:  global
        .offset:         24
        .size:           8
        .value_kind:     global_buffer
      - .address_space:  global
        .offset:         32
        .size:           8
        .value_kind:     global_buffer
      - .address_space:  global
        .offset:         40
        .size:           8
        .value_kind:     global_buffer
      - .address_space:  global
        .offset:         48
        .size:           8
        .value_kind:     global_buffer
      - .address_space:  global
        .offset:         56
        .size:           8
        .value_kind:     global_buffer
      - .address_space:  global
        .offset:         64
        .size:           8
        .value_kind:     global_buffer
      - .offset:         72
        .size:           8
        .value_kind:     by_value
      - .offset:         80
        .size:           4
        .value_kind:     by_value
      - .offset:         84
        .size:           4
        .value_kind:     by_value
      - .offset:         88
        .size:           8
        .value_kind:     by_value
      - .offset:         96
        .size:           8
        .value_kind:     by_value
      - .offset:         104
        .size:           8
        .value_kind:     by_value
      - .offset:         112
        .size:           8
        .value_kind:     by_value
      - .offset:         120
        .size:           1
        .value_kind:     by_value
    .group_segment_fixed_size: 8192
    .kernarg_segment_align: 8
    .kernarg_segment_size: 124
    .language:       OpenCL C
    .language_version:
      - 2
      - 0
    .max_flat_workgroup_size: 256
    .name:           _ZN9rocsparseL12csrilu0_hashILj256ELj32ELj4EfEEviPKiS2_PT2_S2_PiS2_S5_S5_d21rocsparse_index_base_imNS_24const_host_device_scalarIfEENS7_IdEENS7_IS3_EEb
    .private_segment_fixed_size: 0
    .sgpr_count:     68
    .sgpr_spill_count: 0
    .symbol:         _ZN9rocsparseL12csrilu0_hashILj256ELj32ELj4EfEEviPKiS2_PT2_S2_PiS2_S5_S5_d21rocsparse_index_base_imNS_24const_host_device_scalarIfEENS7_IdEENS7_IS3_EEb.kd
    .uniform_work_group_size: 1
    .uses_dynamic_stack: false
    .vgpr_count:     24
    .vgpr_spill_count: 0
    .wavefront_size: 64
  - .agpr_count:     0
    .args:
      - .offset:         0
        .size:           4
        .value_kind:     by_value
      - .address_space:  global
        .offset:         8
        .size:           8
        .value_kind:     global_buffer
      - .address_space:  global
        .offset:         16
        .size:           8
        .value_kind:     global_buffer
      - .address_space:  global
        .offset:         24
        .size:           8
        .value_kind:     global_buffer
      - .address_space:  global
        .offset:         32
        .size:           8
        .value_kind:     global_buffer
      - .address_space:  global
        .offset:         40
        .size:           8
        .value_kind:     global_buffer
      - .address_space:  global
        .offset:         48
        .size:           8
        .value_kind:     global_buffer
      - .address_space:  global
        .offset:         56
        .size:           8
        .value_kind:     global_buffer
      - .address_space:  global
        .offset:         64
        .size:           8
        .value_kind:     global_buffer
      - .offset:         72
        .size:           8
        .value_kind:     by_value
      - .offset:         80
        .size:           4
        .value_kind:     by_value
      - .offset:         84
        .size:           4
        .value_kind:     by_value
      - .offset:         88
        .size:           8
        .value_kind:     by_value
      - .offset:         96
        .size:           8
        .value_kind:     by_value
      - .offset:         104
        .size:           8
        .value_kind:     by_value
      - .offset:         112
        .size:           8
        .value_kind:     by_value
      - .offset:         120
        .size:           1
        .value_kind:     by_value
    .group_segment_fixed_size: 16384
    .kernarg_segment_align: 8
    .kernarg_segment_size: 124
    .language:       OpenCL C
    .language_version:
      - 2
      - 0
    .max_flat_workgroup_size: 256
    .name:           _ZN9rocsparseL12csrilu0_hashILj256ELj32ELj8EfEEviPKiS2_PT2_S2_PiS2_S5_S5_d21rocsparse_index_base_imNS_24const_host_device_scalarIfEENS7_IdEENS7_IS3_EEb
    .private_segment_fixed_size: 0
    .sgpr_count:     68
    .sgpr_spill_count: 0
    .symbol:         _ZN9rocsparseL12csrilu0_hashILj256ELj32ELj8EfEEviPKiS2_PT2_S2_PiS2_S5_S5_d21rocsparse_index_base_imNS_24const_host_device_scalarIfEENS7_IdEENS7_IS3_EEb.kd
    .uniform_work_group_size: 1
    .uses_dynamic_stack: false
    .vgpr_count:     24
    .vgpr_spill_count: 0
    .wavefront_size: 64
  - .agpr_count:     0
    .args:
      - .offset:         0
        .size:           4
        .value_kind:     by_value
      - .address_space:  global
        .offset:         8
        .size:           8
        .value_kind:     global_buffer
      - .address_space:  global
        .offset:         16
        .size:           8
        .value_kind:     global_buffer
      - .address_space:  global
        .offset:         24
        .size:           8
        .value_kind:     global_buffer
      - .address_space:  global
        .offset:         32
        .size:           8
        .value_kind:     global_buffer
      - .address_space:  global
        .offset:         40
        .size:           8
        .value_kind:     global_buffer
      - .address_space:  global
        .offset:         48
        .size:           8
        .value_kind:     global_buffer
      - .address_space:  global
        .offset:         56
        .size:           8
        .value_kind:     global_buffer
      - .address_space:  global
        .offset:         64
        .size:           8
        .value_kind:     global_buffer
      - .offset:         72
        .size:           8
        .value_kind:     by_value
      - .offset:         80
        .size:           4
        .value_kind:     by_value
      - .offset:         84
        .size:           4
        .value_kind:     by_value
      - .offset:         88
        .size:           8
        .value_kind:     by_value
      - .offset:         96
        .size:           8
        .value_kind:     by_value
      - .offset:         104
        .size:           8
        .value_kind:     by_value
      - .offset:         112
        .size:           8
        .value_kind:     by_value
      - .offset:         120
        .size:           1
        .value_kind:     by_value
    .group_segment_fixed_size: 32768
    .kernarg_segment_align: 8
    .kernarg_segment_size: 124
    .language:       OpenCL C
    .language_version:
      - 2
      - 0
    .max_flat_workgroup_size: 256
    .name:           _ZN9rocsparseL12csrilu0_hashILj256ELj32ELj16EfEEviPKiS2_PT2_S2_PiS2_S5_S5_d21rocsparse_index_base_imNS_24const_host_device_scalarIfEENS7_IdEENS7_IS3_EEb
    .private_segment_fixed_size: 0
    .sgpr_count:     68
    .sgpr_spill_count: 0
    .symbol:         _ZN9rocsparseL12csrilu0_hashILj256ELj32ELj16EfEEviPKiS2_PT2_S2_PiS2_S5_S5_d21rocsparse_index_base_imNS_24const_host_device_scalarIfEENS7_IdEENS7_IS3_EEb.kd
    .uniform_work_group_size: 1
    .uses_dynamic_stack: false
    .vgpr_count:     24
    .vgpr_spill_count: 0
    .wavefront_size: 64
  - .agpr_count:     0
    .args:
      - .offset:         0
        .size:           4
        .value_kind:     by_value
      - .address_space:  global
        .offset:         8
        .size:           8
        .value_kind:     global_buffer
      - .address_space:  global
        .offset:         16
        .size:           8
        .value_kind:     global_buffer
      - .address_space:  global
        .offset:         24
        .size:           8
        .value_kind:     global_buffer
      - .address_space:  global
        .offset:         32
        .size:           8
        .value_kind:     global_buffer
      - .address_space:  global
        .offset:         40
        .size:           8
        .value_kind:     global_buffer
      - .address_space:  global
        .offset:         48
        .size:           8
        .value_kind:     global_buffer
      - .address_space:  global
        .offset:         56
        .size:           8
        .value_kind:     global_buffer
      - .address_space:  global
        .offset:         64
        .size:           8
        .value_kind:     global_buffer
      - .offset:         72
        .size:           8
        .value_kind:     by_value
      - .offset:         80
        .size:           4
        .value_kind:     by_value
      - .offset:         84
        .size:           4
        .value_kind:     by_value
      - .offset:         88
        .size:           8
        .value_kind:     by_value
      - .offset:         96
        .size:           8
        .value_kind:     by_value
      - .offset:         104
        .size:           8
        .value_kind:     by_value
      - .offset:         112
        .size:           8
        .value_kind:     by_value
      - .offset:         120
        .size:           1
        .value_kind:     by_value
    .group_segment_fixed_size: 0
    .kernarg_segment_align: 8
    .kernarg_segment_size: 124
    .language:       OpenCL C
    .language_version:
      - 2
      - 0
    .max_flat_workgroup_size: 256
    .name:           _ZN9rocsparseL17csrilu0_binsearchILj256ELj32ELb0EfEEviPKiS2_PT2_S2_PiS2_S5_S5_d21rocsparse_index_base_imNS_24const_host_device_scalarIfEENS7_IdEENS7_IS3_EEb
    .private_segment_fixed_size: 0
    .sgpr_count:     44
    .sgpr_spill_count: 0
    .symbol:         _ZN9rocsparseL17csrilu0_binsearchILj256ELj32ELb0EfEEviPKiS2_PT2_S2_PiS2_S5_S5_d21rocsparse_index_base_imNS_24const_host_device_scalarIfEENS7_IdEENS7_IS3_EEb.kd
    .uniform_work_group_size: 1
    .uses_dynamic_stack: false
    .vgpr_count:     24
    .vgpr_spill_count: 0
    .wavefront_size: 64
  - .agpr_count:     0
    .args:
      - .offset:         0
        .size:           4
        .value_kind:     by_value
      - .address_space:  global
        .offset:         8
        .size:           8
        .value_kind:     global_buffer
      - .address_space:  global
        .offset:         16
        .size:           8
        .value_kind:     global_buffer
      - .address_space:  global
        .offset:         24
        .size:           8
        .value_kind:     global_buffer
      - .address_space:  global
        .offset:         32
        .size:           8
        .value_kind:     global_buffer
      - .address_space:  global
        .offset:         40
        .size:           8
        .value_kind:     global_buffer
      - .address_space:  global
        .offset:         48
        .size:           8
        .value_kind:     global_buffer
      - .address_space:  global
        .offset:         56
        .size:           8
        .value_kind:     global_buffer
      - .address_space:  global
        .offset:         64
        .size:           8
        .value_kind:     global_buffer
      - .offset:         72
        .size:           8
        .value_kind:     by_value
      - .offset:         80
        .size:           4
        .value_kind:     by_value
      - .offset:         84
        .size:           4
        .value_kind:     by_value
      - .offset:         88
        .size:           8
        .value_kind:     by_value
      - .offset:         96
        .size:           8
        .value_kind:     by_value
      - .offset:         104
        .size:           8
        .value_kind:     by_value
      - .offset:         112
        .size:           8
        .value_kind:     by_value
      - .offset:         120
        .size:           1
        .value_kind:     by_value
    .group_segment_fixed_size: 2048
    .kernarg_segment_align: 8
    .kernarg_segment_size: 124
    .language:       OpenCL C
    .language_version:
      - 2
      - 0
    .max_flat_workgroup_size: 256
    .name:           _ZN9rocsparseL12csrilu0_hashILj256ELj64ELj1EfEEviPKiS2_PT2_S2_PiS2_S5_S5_d21rocsparse_index_base_imNS_24const_host_device_scalarIfEENS7_IdEENS7_IS3_EEb
    .private_segment_fixed_size: 0
    .sgpr_count:     68
    .sgpr_spill_count: 0
    .symbol:         _ZN9rocsparseL12csrilu0_hashILj256ELj64ELj1EfEEviPKiS2_PT2_S2_PiS2_S5_S5_d21rocsparse_index_base_imNS_24const_host_device_scalarIfEENS7_IdEENS7_IS3_EEb.kd
    .uniform_work_group_size: 1
    .uses_dynamic_stack: false
    .vgpr_count:     24
    .vgpr_spill_count: 0
    .wavefront_size: 64
  - .agpr_count:     0
    .args:
      - .offset:         0
        .size:           4
        .value_kind:     by_value
      - .address_space:  global
        .offset:         8
        .size:           8
        .value_kind:     global_buffer
      - .address_space:  global
        .offset:         16
        .size:           8
        .value_kind:     global_buffer
      - .address_space:  global
        .offset:         24
        .size:           8
        .value_kind:     global_buffer
      - .address_space:  global
        .offset:         32
        .size:           8
        .value_kind:     global_buffer
      - .address_space:  global
        .offset:         40
        .size:           8
        .value_kind:     global_buffer
      - .address_space:  global
        .offset:         48
        .size:           8
        .value_kind:     global_buffer
      - .address_space:  global
        .offset:         56
        .size:           8
        .value_kind:     global_buffer
      - .address_space:  global
        .offset:         64
        .size:           8
        .value_kind:     global_buffer
      - .offset:         72
        .size:           8
        .value_kind:     by_value
      - .offset:         80
        .size:           4
        .value_kind:     by_value
      - .offset:         84
        .size:           4
        .value_kind:     by_value
      - .offset:         88
        .size:           8
        .value_kind:     by_value
      - .offset:         96
        .size:           8
        .value_kind:     by_value
      - .offset:         104
        .size:           8
        .value_kind:     by_value
      - .offset:         112
        .size:           8
        .value_kind:     by_value
      - .offset:         120
        .size:           1
        .value_kind:     by_value
    .group_segment_fixed_size: 4096
    .kernarg_segment_align: 8
    .kernarg_segment_size: 124
    .language:       OpenCL C
    .language_version:
      - 2
      - 0
    .max_flat_workgroup_size: 256
    .name:           _ZN9rocsparseL12csrilu0_hashILj256ELj64ELj2EfEEviPKiS2_PT2_S2_PiS2_S5_S5_d21rocsparse_index_base_imNS_24const_host_device_scalarIfEENS7_IdEENS7_IS3_EEb
    .private_segment_fixed_size: 0
    .sgpr_count:     68
    .sgpr_spill_count: 0
    .symbol:         _ZN9rocsparseL12csrilu0_hashILj256ELj64ELj2EfEEviPKiS2_PT2_S2_PiS2_S5_S5_d21rocsparse_index_base_imNS_24const_host_device_scalarIfEENS7_IdEENS7_IS3_EEb.kd
    .uniform_work_group_size: 1
    .uses_dynamic_stack: false
    .vgpr_count:     24
    .vgpr_spill_count: 0
    .wavefront_size: 64
  - .agpr_count:     0
    .args:
      - .offset:         0
        .size:           4
        .value_kind:     by_value
      - .address_space:  global
        .offset:         8
        .size:           8
        .value_kind:     global_buffer
      - .address_space:  global
        .offset:         16
        .size:           8
        .value_kind:     global_buffer
      - .address_space:  global
        .offset:         24
        .size:           8
        .value_kind:     global_buffer
      - .address_space:  global
        .offset:         32
        .size:           8
        .value_kind:     global_buffer
      - .address_space:  global
        .offset:         40
        .size:           8
        .value_kind:     global_buffer
      - .address_space:  global
        .offset:         48
        .size:           8
        .value_kind:     global_buffer
      - .address_space:  global
        .offset:         56
        .size:           8
        .value_kind:     global_buffer
      - .address_space:  global
        .offset:         64
        .size:           8
        .value_kind:     global_buffer
      - .offset:         72
        .size:           8
        .value_kind:     by_value
      - .offset:         80
        .size:           4
        .value_kind:     by_value
      - .offset:         84
        .size:           4
        .value_kind:     by_value
      - .offset:         88
        .size:           8
        .value_kind:     by_value
      - .offset:         96
        .size:           8
        .value_kind:     by_value
      - .offset:         104
        .size:           8
        .value_kind:     by_value
      - .offset:         112
        .size:           8
        .value_kind:     by_value
      - .offset:         120
        .size:           1
        .value_kind:     by_value
    .group_segment_fixed_size: 8192
    .kernarg_segment_align: 8
    .kernarg_segment_size: 124
    .language:       OpenCL C
    .language_version:
      - 2
      - 0
    .max_flat_workgroup_size: 256
    .name:           _ZN9rocsparseL12csrilu0_hashILj256ELj64ELj4EfEEviPKiS2_PT2_S2_PiS2_S5_S5_d21rocsparse_index_base_imNS_24const_host_device_scalarIfEENS7_IdEENS7_IS3_EEb
    .private_segment_fixed_size: 0
    .sgpr_count:     68
    .sgpr_spill_count: 0
    .symbol:         _ZN9rocsparseL12csrilu0_hashILj256ELj64ELj4EfEEviPKiS2_PT2_S2_PiS2_S5_S5_d21rocsparse_index_base_imNS_24const_host_device_scalarIfEENS7_IdEENS7_IS3_EEb.kd
    .uniform_work_group_size: 1
    .uses_dynamic_stack: false
    .vgpr_count:     24
    .vgpr_spill_count: 0
    .wavefront_size: 64
  - .agpr_count:     0
    .args:
      - .offset:         0
        .size:           4
        .value_kind:     by_value
      - .address_space:  global
        .offset:         8
        .size:           8
        .value_kind:     global_buffer
      - .address_space:  global
        .offset:         16
        .size:           8
        .value_kind:     global_buffer
      - .address_space:  global
        .offset:         24
        .size:           8
        .value_kind:     global_buffer
      - .address_space:  global
        .offset:         32
        .size:           8
        .value_kind:     global_buffer
      - .address_space:  global
        .offset:         40
        .size:           8
        .value_kind:     global_buffer
      - .address_space:  global
        .offset:         48
        .size:           8
        .value_kind:     global_buffer
      - .address_space:  global
        .offset:         56
        .size:           8
        .value_kind:     global_buffer
      - .address_space:  global
        .offset:         64
        .size:           8
        .value_kind:     global_buffer
      - .offset:         72
        .size:           8
        .value_kind:     by_value
      - .offset:         80
        .size:           4
        .value_kind:     by_value
      - .offset:         84
        .size:           4
        .value_kind:     by_value
      - .offset:         88
        .size:           8
        .value_kind:     by_value
      - .offset:         96
        .size:           8
        .value_kind:     by_value
      - .offset:         104
        .size:           8
        .value_kind:     by_value
      - .offset:         112
        .size:           8
        .value_kind:     by_value
      - .offset:         120
        .size:           1
        .value_kind:     by_value
    .group_segment_fixed_size: 16384
    .kernarg_segment_align: 8
    .kernarg_segment_size: 124
    .language:       OpenCL C
    .language_version:
      - 2
      - 0
    .max_flat_workgroup_size: 256
    .name:           _ZN9rocsparseL12csrilu0_hashILj256ELj64ELj8EfEEviPKiS2_PT2_S2_PiS2_S5_S5_d21rocsparse_index_base_imNS_24const_host_device_scalarIfEENS7_IdEENS7_IS3_EEb
    .private_segment_fixed_size: 0
    .sgpr_count:     68
    .sgpr_spill_count: 0
    .symbol:         _ZN9rocsparseL12csrilu0_hashILj256ELj64ELj8EfEEviPKiS2_PT2_S2_PiS2_S5_S5_d21rocsparse_index_base_imNS_24const_host_device_scalarIfEENS7_IdEENS7_IS3_EEb.kd
    .uniform_work_group_size: 1
    .uses_dynamic_stack: false
    .vgpr_count:     24
    .vgpr_spill_count: 0
    .wavefront_size: 64
  - .agpr_count:     0
    .args:
      - .offset:         0
        .size:           4
        .value_kind:     by_value
      - .address_space:  global
        .offset:         8
        .size:           8
        .value_kind:     global_buffer
      - .address_space:  global
        .offset:         16
        .size:           8
        .value_kind:     global_buffer
      - .address_space:  global
        .offset:         24
        .size:           8
        .value_kind:     global_buffer
      - .address_space:  global
        .offset:         32
        .size:           8
        .value_kind:     global_buffer
      - .address_space:  global
        .offset:         40
        .size:           8
        .value_kind:     global_buffer
      - .address_space:  global
        .offset:         48
        .size:           8
        .value_kind:     global_buffer
      - .address_space:  global
        .offset:         56
        .size:           8
        .value_kind:     global_buffer
      - .address_space:  global
        .offset:         64
        .size:           8
        .value_kind:     global_buffer
      - .offset:         72
        .size:           8
        .value_kind:     by_value
      - .offset:         80
        .size:           4
        .value_kind:     by_value
      - .offset:         84
        .size:           4
        .value_kind:     by_value
      - .offset:         88
        .size:           8
        .value_kind:     by_value
      - .offset:         96
        .size:           8
        .value_kind:     by_value
      - .offset:         104
        .size:           8
        .value_kind:     by_value
      - .offset:         112
        .size:           8
        .value_kind:     by_value
      - .offset:         120
        .size:           1
        .value_kind:     by_value
    .group_segment_fixed_size: 32768
    .kernarg_segment_align: 8
    .kernarg_segment_size: 124
    .language:       OpenCL C
    .language_version:
      - 2
      - 0
    .max_flat_workgroup_size: 256
    .name:           _ZN9rocsparseL12csrilu0_hashILj256ELj64ELj16EfEEviPKiS2_PT2_S2_PiS2_S5_S5_d21rocsparse_index_base_imNS_24const_host_device_scalarIfEENS7_IdEENS7_IS3_EEb
    .private_segment_fixed_size: 0
    .sgpr_count:     68
    .sgpr_spill_count: 0
    .symbol:         _ZN9rocsparseL12csrilu0_hashILj256ELj64ELj16EfEEviPKiS2_PT2_S2_PiS2_S5_S5_d21rocsparse_index_base_imNS_24const_host_device_scalarIfEENS7_IdEENS7_IS3_EEb.kd
    .uniform_work_group_size: 1
    .uses_dynamic_stack: false
    .vgpr_count:     24
    .vgpr_spill_count: 0
    .wavefront_size: 64
  - .agpr_count:     0
    .args:
      - .offset:         0
        .size:           4
        .value_kind:     by_value
      - .address_space:  global
        .offset:         8
        .size:           8
        .value_kind:     global_buffer
      - .address_space:  global
        .offset:         16
        .size:           8
        .value_kind:     global_buffer
      - .address_space:  global
        .offset:         24
        .size:           8
        .value_kind:     global_buffer
      - .address_space:  global
        .offset:         32
        .size:           8
        .value_kind:     global_buffer
      - .address_space:  global
        .offset:         40
        .size:           8
        .value_kind:     global_buffer
      - .address_space:  global
        .offset:         48
        .size:           8
        .value_kind:     global_buffer
      - .address_space:  global
        .offset:         56
        .size:           8
        .value_kind:     global_buffer
      - .address_space:  global
        .offset:         64
        .size:           8
        .value_kind:     global_buffer
      - .offset:         72
        .size:           8
        .value_kind:     by_value
      - .offset:         80
        .size:           4
        .value_kind:     by_value
      - .offset:         84
        .size:           4
        .value_kind:     by_value
      - .offset:         88
        .size:           8
        .value_kind:     by_value
      - .offset:         96
        .size:           8
        .value_kind:     by_value
      - .offset:         104
        .size:           8
        .value_kind:     by_value
      - .offset:         112
        .size:           8
        .value_kind:     by_value
      - .offset:         120
        .size:           1
        .value_kind:     by_value
    .group_segment_fixed_size: 0
    .kernarg_segment_align: 8
    .kernarg_segment_size: 124
    .language:       OpenCL C
    .language_version:
      - 2
      - 0
    .max_flat_workgroup_size: 256
    .name:           _ZN9rocsparseL17csrilu0_binsearchILj256ELj64ELb0EfEEviPKiS2_PT2_S2_PiS2_S5_S5_d21rocsparse_index_base_imNS_24const_host_device_scalarIfEENS7_IdEENS7_IS3_EEb
    .private_segment_fixed_size: 0
    .sgpr_count:     44
    .sgpr_spill_count: 0
    .symbol:         _ZN9rocsparseL17csrilu0_binsearchILj256ELj64ELb0EfEEviPKiS2_PT2_S2_PiS2_S5_S5_d21rocsparse_index_base_imNS_24const_host_device_scalarIfEENS7_IdEENS7_IS3_EEb.kd
    .uniform_work_group_size: 1
    .uses_dynamic_stack: false
    .vgpr_count:     24
    .vgpr_spill_count: 0
    .wavefront_size: 64
  - .agpr_count:     0
    .args:
      - .offset:         0
        .size:           4
        .value_kind:     by_value
      - .address_space:  global
        .offset:         8
        .size:           8
        .value_kind:     global_buffer
      - .address_space:  global
        .offset:         16
        .size:           8
        .value_kind:     global_buffer
      - .address_space:  global
        .offset:         24
        .size:           8
        .value_kind:     global_buffer
      - .address_space:  global
        .offset:         32
        .size:           8
        .value_kind:     global_buffer
      - .address_space:  global
        .offset:         40
        .size:           8
        .value_kind:     global_buffer
      - .address_space:  global
        .offset:         48
        .size:           8
        .value_kind:     global_buffer
      - .address_space:  global
        .offset:         56
        .size:           8
        .value_kind:     global_buffer
      - .address_space:  global
        .offset:         64
        .size:           8
        .value_kind:     global_buffer
      - .offset:         72
        .size:           8
        .value_kind:     by_value
      - .offset:         80
        .size:           4
        .value_kind:     by_value
      - .offset:         84
        .size:           4
        .value_kind:     by_value
      - .offset:         88
        .size:           8
        .value_kind:     by_value
      - .offset:         96
        .size:           8
        .value_kind:     by_value
      - .offset:         104
        .size:           8
        .value_kind:     by_value
      - .offset:         112
        .size:           8
        .value_kind:     by_value
      - .offset:         120
        .size:           1
        .value_kind:     by_value
    .group_segment_fixed_size: 0
    .kernarg_segment_align: 8
    .kernarg_segment_size: 124
    .language:       OpenCL C
    .language_version:
      - 2
      - 0
    .max_flat_workgroup_size: 256
    .name:           _ZN9rocsparseL17csrilu0_binsearchILj256ELj64ELb1EdEEviPKiS2_PT2_S2_PiS2_S5_S5_d21rocsparse_index_base_imNS_24const_host_device_scalarIfEENS7_IdEENS7_IS3_EEb
    .private_segment_fixed_size: 0
    .sgpr_count:     44
    .sgpr_spill_count: 0
    .symbol:         _ZN9rocsparseL17csrilu0_binsearchILj256ELj64ELb1EdEEviPKiS2_PT2_S2_PiS2_S5_S5_d21rocsparse_index_base_imNS_24const_host_device_scalarIfEENS7_IdEENS7_IS3_EEb.kd
    .uniform_work_group_size: 1
    .uses_dynamic_stack: false
    .vgpr_count:     30
    .vgpr_spill_count: 0
    .wavefront_size: 64
  - .agpr_count:     0
    .args:
      - .offset:         0
        .size:           4
        .value_kind:     by_value
      - .address_space:  global
        .offset:         8
        .size:           8
        .value_kind:     global_buffer
      - .address_space:  global
        .offset:         16
        .size:           8
        .value_kind:     global_buffer
      - .address_space:  global
        .offset:         24
        .size:           8
        .value_kind:     global_buffer
      - .address_space:  global
        .offset:         32
        .size:           8
        .value_kind:     global_buffer
      - .address_space:  global
        .offset:         40
        .size:           8
        .value_kind:     global_buffer
      - .address_space:  global
        .offset:         48
        .size:           8
        .value_kind:     global_buffer
      - .address_space:  global
        .offset:         56
        .size:           8
        .value_kind:     global_buffer
      - .address_space:  global
        .offset:         64
        .size:           8
        .value_kind:     global_buffer
      - .offset:         72
        .size:           8
        .value_kind:     by_value
      - .offset:         80
        .size:           4
        .value_kind:     by_value
      - .offset:         84
        .size:           4
        .value_kind:     by_value
      - .offset:         88
        .size:           8
        .value_kind:     by_value
      - .offset:         96
        .size:           8
        .value_kind:     by_value
      - .offset:         104
        .size:           8
        .value_kind:     by_value
      - .offset:         112
        .size:           8
        .value_kind:     by_value
      - .offset:         120
        .size:           1
        .value_kind:     by_value
    .group_segment_fixed_size: 2048
    .kernarg_segment_align: 8
    .kernarg_segment_size: 124
    .language:       OpenCL C
    .language_version:
      - 2
      - 0
    .max_flat_workgroup_size: 256
    .name:           _ZN9rocsparseL12csrilu0_hashILj256ELj32ELj1EdEEviPKiS2_PT2_S2_PiS2_S5_S5_d21rocsparse_index_base_imNS_24const_host_device_scalarIfEENS7_IdEENS7_IS3_EEb
    .private_segment_fixed_size: 0
    .sgpr_count:     68
    .sgpr_spill_count: 0
    .symbol:         _ZN9rocsparseL12csrilu0_hashILj256ELj32ELj1EdEEviPKiS2_PT2_S2_PiS2_S5_S5_d21rocsparse_index_base_imNS_24const_host_device_scalarIfEENS7_IdEENS7_IS3_EEb.kd
    .uniform_work_group_size: 1
    .uses_dynamic_stack: false
    .vgpr_count:     30
    .vgpr_spill_count: 0
    .wavefront_size: 64
  - .agpr_count:     0
    .args:
      - .offset:         0
        .size:           4
        .value_kind:     by_value
      - .address_space:  global
        .offset:         8
        .size:           8
        .value_kind:     global_buffer
      - .address_space:  global
        .offset:         16
        .size:           8
        .value_kind:     global_buffer
      - .address_space:  global
        .offset:         24
        .size:           8
        .value_kind:     global_buffer
      - .address_space:  global
        .offset:         32
        .size:           8
        .value_kind:     global_buffer
      - .address_space:  global
        .offset:         40
        .size:           8
        .value_kind:     global_buffer
      - .address_space:  global
        .offset:         48
        .size:           8
        .value_kind:     global_buffer
      - .address_space:  global
        .offset:         56
        .size:           8
        .value_kind:     global_buffer
      - .address_space:  global
        .offset:         64
        .size:           8
        .value_kind:     global_buffer
      - .offset:         72
        .size:           8
        .value_kind:     by_value
      - .offset:         80
        .size:           4
        .value_kind:     by_value
      - .offset:         84
        .size:           4
        .value_kind:     by_value
      - .offset:         88
        .size:           8
        .value_kind:     by_value
      - .offset:         96
        .size:           8
        .value_kind:     by_value
      - .offset:         104
        .size:           8
        .value_kind:     by_value
      - .offset:         112
        .size:           8
        .value_kind:     by_value
      - .offset:         120
        .size:           1
        .value_kind:     by_value
    .group_segment_fixed_size: 4096
    .kernarg_segment_align: 8
    .kernarg_segment_size: 124
    .language:       OpenCL C
    .language_version:
      - 2
      - 0
    .max_flat_workgroup_size: 256
    .name:           _ZN9rocsparseL12csrilu0_hashILj256ELj32ELj2EdEEviPKiS2_PT2_S2_PiS2_S5_S5_d21rocsparse_index_base_imNS_24const_host_device_scalarIfEENS7_IdEENS7_IS3_EEb
    .private_segment_fixed_size: 0
    .sgpr_count:     68
    .sgpr_spill_count: 0
    .symbol:         _ZN9rocsparseL12csrilu0_hashILj256ELj32ELj2EdEEviPKiS2_PT2_S2_PiS2_S5_S5_d21rocsparse_index_base_imNS_24const_host_device_scalarIfEENS7_IdEENS7_IS3_EEb.kd
    .uniform_work_group_size: 1
    .uses_dynamic_stack: false
    .vgpr_count:     30
    .vgpr_spill_count: 0
    .wavefront_size: 64
  - .agpr_count:     0
    .args:
      - .offset:         0
        .size:           4
        .value_kind:     by_value
      - .address_space:  global
        .offset:         8
        .size:           8
        .value_kind:     global_buffer
      - .address_space:  global
        .offset:         16
        .size:           8
        .value_kind:     global_buffer
      - .address_space:  global
        .offset:         24
        .size:           8
        .value_kind:     global_buffer
      - .address_space:  global
        .offset:         32
        .size:           8
        .value_kind:     global_buffer
      - .address_space:  global
        .offset:         40
        .size:           8
        .value_kind:     global_buffer
      - .address_space:  global
        .offset:         48
        .size:           8
        .value_kind:     global_buffer
      - .address_space:  global
        .offset:         56
        .size:           8
        .value_kind:     global_buffer
      - .address_space:  global
        .offset:         64
        .size:           8
        .value_kind:     global_buffer
      - .offset:         72
        .size:           8
        .value_kind:     by_value
      - .offset:         80
        .size:           4
        .value_kind:     by_value
      - .offset:         84
        .size:           4
        .value_kind:     by_value
      - .offset:         88
        .size:           8
        .value_kind:     by_value
      - .offset:         96
        .size:           8
        .value_kind:     by_value
      - .offset:         104
        .size:           8
        .value_kind:     by_value
      - .offset:         112
        .size:           8
        .value_kind:     by_value
      - .offset:         120
        .size:           1
        .value_kind:     by_value
    .group_segment_fixed_size: 8192
    .kernarg_segment_align: 8
    .kernarg_segment_size: 124
    .language:       OpenCL C
    .language_version:
      - 2
      - 0
    .max_flat_workgroup_size: 256
    .name:           _ZN9rocsparseL12csrilu0_hashILj256ELj32ELj4EdEEviPKiS2_PT2_S2_PiS2_S5_S5_d21rocsparse_index_base_imNS_24const_host_device_scalarIfEENS7_IdEENS7_IS3_EEb
    .private_segment_fixed_size: 0
    .sgpr_count:     68
    .sgpr_spill_count: 0
    .symbol:         _ZN9rocsparseL12csrilu0_hashILj256ELj32ELj4EdEEviPKiS2_PT2_S2_PiS2_S5_S5_d21rocsparse_index_base_imNS_24const_host_device_scalarIfEENS7_IdEENS7_IS3_EEb.kd
    .uniform_work_group_size: 1
    .uses_dynamic_stack: false
    .vgpr_count:     30
    .vgpr_spill_count: 0
    .wavefront_size: 64
  - .agpr_count:     0
    .args:
      - .offset:         0
        .size:           4
        .value_kind:     by_value
      - .address_space:  global
        .offset:         8
        .size:           8
        .value_kind:     global_buffer
      - .address_space:  global
        .offset:         16
        .size:           8
        .value_kind:     global_buffer
      - .address_space:  global
        .offset:         24
        .size:           8
        .value_kind:     global_buffer
      - .address_space:  global
        .offset:         32
        .size:           8
        .value_kind:     global_buffer
      - .address_space:  global
        .offset:         40
        .size:           8
        .value_kind:     global_buffer
      - .address_space:  global
        .offset:         48
        .size:           8
        .value_kind:     global_buffer
      - .address_space:  global
        .offset:         56
        .size:           8
        .value_kind:     global_buffer
      - .address_space:  global
        .offset:         64
        .size:           8
        .value_kind:     global_buffer
      - .offset:         72
        .size:           8
        .value_kind:     by_value
      - .offset:         80
        .size:           4
        .value_kind:     by_value
      - .offset:         84
        .size:           4
        .value_kind:     by_value
      - .offset:         88
        .size:           8
        .value_kind:     by_value
      - .offset:         96
        .size:           8
        .value_kind:     by_value
      - .offset:         104
        .size:           8
        .value_kind:     by_value
      - .offset:         112
        .size:           8
        .value_kind:     by_value
      - .offset:         120
        .size:           1
        .value_kind:     by_value
    .group_segment_fixed_size: 16384
    .kernarg_segment_align: 8
    .kernarg_segment_size: 124
    .language:       OpenCL C
    .language_version:
      - 2
      - 0
    .max_flat_workgroup_size: 256
    .name:           _ZN9rocsparseL12csrilu0_hashILj256ELj32ELj8EdEEviPKiS2_PT2_S2_PiS2_S5_S5_d21rocsparse_index_base_imNS_24const_host_device_scalarIfEENS7_IdEENS7_IS3_EEb
    .private_segment_fixed_size: 0
    .sgpr_count:     68
    .sgpr_spill_count: 0
    .symbol:         _ZN9rocsparseL12csrilu0_hashILj256ELj32ELj8EdEEviPKiS2_PT2_S2_PiS2_S5_S5_d21rocsparse_index_base_imNS_24const_host_device_scalarIfEENS7_IdEENS7_IS3_EEb.kd
    .uniform_work_group_size: 1
    .uses_dynamic_stack: false
    .vgpr_count:     30
    .vgpr_spill_count: 0
    .wavefront_size: 64
  - .agpr_count:     0
    .args:
      - .offset:         0
        .size:           4
        .value_kind:     by_value
      - .address_space:  global
        .offset:         8
        .size:           8
        .value_kind:     global_buffer
      - .address_space:  global
        .offset:         16
        .size:           8
        .value_kind:     global_buffer
      - .address_space:  global
        .offset:         24
        .size:           8
        .value_kind:     global_buffer
      - .address_space:  global
        .offset:         32
        .size:           8
        .value_kind:     global_buffer
      - .address_space:  global
        .offset:         40
        .size:           8
        .value_kind:     global_buffer
      - .address_space:  global
        .offset:         48
        .size:           8
        .value_kind:     global_buffer
      - .address_space:  global
        .offset:         56
        .size:           8
        .value_kind:     global_buffer
      - .address_space:  global
        .offset:         64
        .size:           8
        .value_kind:     global_buffer
      - .offset:         72
        .size:           8
        .value_kind:     by_value
      - .offset:         80
        .size:           4
        .value_kind:     by_value
      - .offset:         84
        .size:           4
        .value_kind:     by_value
      - .offset:         88
        .size:           8
        .value_kind:     by_value
      - .offset:         96
        .size:           8
        .value_kind:     by_value
      - .offset:         104
        .size:           8
        .value_kind:     by_value
      - .offset:         112
        .size:           8
        .value_kind:     by_value
      - .offset:         120
        .size:           1
        .value_kind:     by_value
    .group_segment_fixed_size: 32768
    .kernarg_segment_align: 8
    .kernarg_segment_size: 124
    .language:       OpenCL C
    .language_version:
      - 2
      - 0
    .max_flat_workgroup_size: 256
    .name:           _ZN9rocsparseL12csrilu0_hashILj256ELj32ELj16EdEEviPKiS2_PT2_S2_PiS2_S5_S5_d21rocsparse_index_base_imNS_24const_host_device_scalarIfEENS7_IdEENS7_IS3_EEb
    .private_segment_fixed_size: 0
    .sgpr_count:     68
    .sgpr_spill_count: 0
    .symbol:         _ZN9rocsparseL12csrilu0_hashILj256ELj32ELj16EdEEviPKiS2_PT2_S2_PiS2_S5_S5_d21rocsparse_index_base_imNS_24const_host_device_scalarIfEENS7_IdEENS7_IS3_EEb.kd
    .uniform_work_group_size: 1
    .uses_dynamic_stack: false
    .vgpr_count:     30
    .vgpr_spill_count: 0
    .wavefront_size: 64
  - .agpr_count:     0
    .args:
      - .offset:         0
        .size:           4
        .value_kind:     by_value
      - .address_space:  global
        .offset:         8
        .size:           8
        .value_kind:     global_buffer
      - .address_space:  global
        .offset:         16
        .size:           8
        .value_kind:     global_buffer
      - .address_space:  global
        .offset:         24
        .size:           8
        .value_kind:     global_buffer
      - .address_space:  global
        .offset:         32
        .size:           8
        .value_kind:     global_buffer
      - .address_space:  global
        .offset:         40
        .size:           8
        .value_kind:     global_buffer
      - .address_space:  global
        .offset:         48
        .size:           8
        .value_kind:     global_buffer
      - .address_space:  global
        .offset:         56
        .size:           8
        .value_kind:     global_buffer
      - .address_space:  global
        .offset:         64
        .size:           8
        .value_kind:     global_buffer
      - .offset:         72
        .size:           8
        .value_kind:     by_value
      - .offset:         80
        .size:           4
        .value_kind:     by_value
      - .offset:         84
        .size:           4
        .value_kind:     by_value
      - .offset:         88
        .size:           8
        .value_kind:     by_value
      - .offset:         96
        .size:           8
        .value_kind:     by_value
      - .offset:         104
        .size:           8
        .value_kind:     by_value
      - .offset:         112
        .size:           8
        .value_kind:     by_value
      - .offset:         120
        .size:           1
        .value_kind:     by_value
    .group_segment_fixed_size: 0
    .kernarg_segment_align: 8
    .kernarg_segment_size: 124
    .language:       OpenCL C
    .language_version:
      - 2
      - 0
    .max_flat_workgroup_size: 256
    .name:           _ZN9rocsparseL17csrilu0_binsearchILj256ELj32ELb0EdEEviPKiS2_PT2_S2_PiS2_S5_S5_d21rocsparse_index_base_imNS_24const_host_device_scalarIfEENS7_IdEENS7_IS3_EEb
    .private_segment_fixed_size: 0
    .sgpr_count:     44
    .sgpr_spill_count: 0
    .symbol:         _ZN9rocsparseL17csrilu0_binsearchILj256ELj32ELb0EdEEviPKiS2_PT2_S2_PiS2_S5_S5_d21rocsparse_index_base_imNS_24const_host_device_scalarIfEENS7_IdEENS7_IS3_EEb.kd
    .uniform_work_group_size: 1
    .uses_dynamic_stack: false
    .vgpr_count:     30
    .vgpr_spill_count: 0
    .wavefront_size: 64
  - .agpr_count:     0
    .args:
      - .offset:         0
        .size:           4
        .value_kind:     by_value
      - .address_space:  global
        .offset:         8
        .size:           8
        .value_kind:     global_buffer
      - .address_space:  global
        .offset:         16
        .size:           8
        .value_kind:     global_buffer
      - .address_space:  global
        .offset:         24
        .size:           8
        .value_kind:     global_buffer
      - .address_space:  global
        .offset:         32
        .size:           8
        .value_kind:     global_buffer
      - .address_space:  global
        .offset:         40
        .size:           8
        .value_kind:     global_buffer
      - .address_space:  global
        .offset:         48
        .size:           8
        .value_kind:     global_buffer
      - .address_space:  global
        .offset:         56
        .size:           8
        .value_kind:     global_buffer
      - .address_space:  global
        .offset:         64
        .size:           8
        .value_kind:     global_buffer
      - .offset:         72
        .size:           8
        .value_kind:     by_value
      - .offset:         80
        .size:           4
        .value_kind:     by_value
      - .offset:         84
        .size:           4
        .value_kind:     by_value
      - .offset:         88
        .size:           8
        .value_kind:     by_value
      - .offset:         96
        .size:           8
        .value_kind:     by_value
      - .offset:         104
        .size:           8
        .value_kind:     by_value
      - .offset:         112
        .size:           8
        .value_kind:     by_value
      - .offset:         120
        .size:           1
        .value_kind:     by_value
    .group_segment_fixed_size: 2048
    .kernarg_segment_align: 8
    .kernarg_segment_size: 124
    .language:       OpenCL C
    .language_version:
      - 2
      - 0
    .max_flat_workgroup_size: 256
    .name:           _ZN9rocsparseL12csrilu0_hashILj256ELj64ELj1EdEEviPKiS2_PT2_S2_PiS2_S5_S5_d21rocsparse_index_base_imNS_24const_host_device_scalarIfEENS7_IdEENS7_IS3_EEb
    .private_segment_fixed_size: 0
    .sgpr_count:     68
    .sgpr_spill_count: 0
    .symbol:         _ZN9rocsparseL12csrilu0_hashILj256ELj64ELj1EdEEviPKiS2_PT2_S2_PiS2_S5_S5_d21rocsparse_index_base_imNS_24const_host_device_scalarIfEENS7_IdEENS7_IS3_EEb.kd
    .uniform_work_group_size: 1
    .uses_dynamic_stack: false
    .vgpr_count:     30
    .vgpr_spill_count: 0
    .wavefront_size: 64
  - .agpr_count:     0
    .args:
      - .offset:         0
        .size:           4
        .value_kind:     by_value
      - .address_space:  global
        .offset:         8
        .size:           8
        .value_kind:     global_buffer
      - .address_space:  global
        .offset:         16
        .size:           8
        .value_kind:     global_buffer
      - .address_space:  global
        .offset:         24
        .size:           8
        .value_kind:     global_buffer
      - .address_space:  global
        .offset:         32
        .size:           8
        .value_kind:     global_buffer
      - .address_space:  global
        .offset:         40
        .size:           8
        .value_kind:     global_buffer
      - .address_space:  global
        .offset:         48
        .size:           8
        .value_kind:     global_buffer
      - .address_space:  global
        .offset:         56
        .size:           8
        .value_kind:     global_buffer
      - .address_space:  global
        .offset:         64
        .size:           8
        .value_kind:     global_buffer
      - .offset:         72
        .size:           8
        .value_kind:     by_value
      - .offset:         80
        .size:           4
        .value_kind:     by_value
      - .offset:         84
        .size:           4
        .value_kind:     by_value
      - .offset:         88
        .size:           8
        .value_kind:     by_value
      - .offset:         96
        .size:           8
        .value_kind:     by_value
      - .offset:         104
        .size:           8
        .value_kind:     by_value
      - .offset:         112
        .size:           8
        .value_kind:     by_value
      - .offset:         120
        .size:           1
        .value_kind:     by_value
    .group_segment_fixed_size: 4096
    .kernarg_segment_align: 8
    .kernarg_segment_size: 124
    .language:       OpenCL C
    .language_version:
      - 2
      - 0
    .max_flat_workgroup_size: 256
    .name:           _ZN9rocsparseL12csrilu0_hashILj256ELj64ELj2EdEEviPKiS2_PT2_S2_PiS2_S5_S5_d21rocsparse_index_base_imNS_24const_host_device_scalarIfEENS7_IdEENS7_IS3_EEb
    .private_segment_fixed_size: 0
    .sgpr_count:     68
    .sgpr_spill_count: 0
    .symbol:         _ZN9rocsparseL12csrilu0_hashILj256ELj64ELj2EdEEviPKiS2_PT2_S2_PiS2_S5_S5_d21rocsparse_index_base_imNS_24const_host_device_scalarIfEENS7_IdEENS7_IS3_EEb.kd
    .uniform_work_group_size: 1
    .uses_dynamic_stack: false
    .vgpr_count:     30
    .vgpr_spill_count: 0
    .wavefront_size: 64
  - .agpr_count:     0
    .args:
      - .offset:         0
        .size:           4
        .value_kind:     by_value
      - .address_space:  global
        .offset:         8
        .size:           8
        .value_kind:     global_buffer
      - .address_space:  global
        .offset:         16
        .size:           8
        .value_kind:     global_buffer
      - .address_space:  global
        .offset:         24
        .size:           8
        .value_kind:     global_buffer
      - .address_space:  global
        .offset:         32
        .size:           8
        .value_kind:     global_buffer
      - .address_space:  global
        .offset:         40
        .size:           8
        .value_kind:     global_buffer
      - .address_space:  global
        .offset:         48
        .size:           8
        .value_kind:     global_buffer
      - .address_space:  global
        .offset:         56
        .size:           8
        .value_kind:     global_buffer
      - .address_space:  global
        .offset:         64
        .size:           8
        .value_kind:     global_buffer
      - .offset:         72
        .size:           8
        .value_kind:     by_value
      - .offset:         80
        .size:           4
        .value_kind:     by_value
      - .offset:         84
        .size:           4
        .value_kind:     by_value
      - .offset:         88
        .size:           8
        .value_kind:     by_value
      - .offset:         96
        .size:           8
        .value_kind:     by_value
      - .offset:         104
        .size:           8
        .value_kind:     by_value
      - .offset:         112
        .size:           8
        .value_kind:     by_value
      - .offset:         120
        .size:           1
        .value_kind:     by_value
    .group_segment_fixed_size: 8192
    .kernarg_segment_align: 8
    .kernarg_segment_size: 124
    .language:       OpenCL C
    .language_version:
      - 2
      - 0
    .max_flat_workgroup_size: 256
    .name:           _ZN9rocsparseL12csrilu0_hashILj256ELj64ELj4EdEEviPKiS2_PT2_S2_PiS2_S5_S5_d21rocsparse_index_base_imNS_24const_host_device_scalarIfEENS7_IdEENS7_IS3_EEb
    .private_segment_fixed_size: 0
    .sgpr_count:     68
    .sgpr_spill_count: 0
    .symbol:         _ZN9rocsparseL12csrilu0_hashILj256ELj64ELj4EdEEviPKiS2_PT2_S2_PiS2_S5_S5_d21rocsparse_index_base_imNS_24const_host_device_scalarIfEENS7_IdEENS7_IS3_EEb.kd
    .uniform_work_group_size: 1
    .uses_dynamic_stack: false
    .vgpr_count:     30
    .vgpr_spill_count: 0
    .wavefront_size: 64
  - .agpr_count:     0
    .args:
      - .offset:         0
        .size:           4
        .value_kind:     by_value
      - .address_space:  global
        .offset:         8
        .size:           8
        .value_kind:     global_buffer
      - .address_space:  global
        .offset:         16
        .size:           8
        .value_kind:     global_buffer
      - .address_space:  global
        .offset:         24
        .size:           8
        .value_kind:     global_buffer
      - .address_space:  global
        .offset:         32
        .size:           8
        .value_kind:     global_buffer
      - .address_space:  global
        .offset:         40
        .size:           8
        .value_kind:     global_buffer
      - .address_space:  global
        .offset:         48
        .size:           8
        .value_kind:     global_buffer
      - .address_space:  global
        .offset:         56
        .size:           8
        .value_kind:     global_buffer
      - .address_space:  global
        .offset:         64
        .size:           8
        .value_kind:     global_buffer
      - .offset:         72
        .size:           8
        .value_kind:     by_value
      - .offset:         80
        .size:           4
        .value_kind:     by_value
      - .offset:         84
        .size:           4
        .value_kind:     by_value
      - .offset:         88
        .size:           8
        .value_kind:     by_value
      - .offset:         96
        .size:           8
        .value_kind:     by_value
      - .offset:         104
        .size:           8
        .value_kind:     by_value
      - .offset:         112
        .size:           8
        .value_kind:     by_value
      - .offset:         120
        .size:           1
        .value_kind:     by_value
    .group_segment_fixed_size: 16384
    .kernarg_segment_align: 8
    .kernarg_segment_size: 124
    .language:       OpenCL C
    .language_version:
      - 2
      - 0
    .max_flat_workgroup_size: 256
    .name:           _ZN9rocsparseL12csrilu0_hashILj256ELj64ELj8EdEEviPKiS2_PT2_S2_PiS2_S5_S5_d21rocsparse_index_base_imNS_24const_host_device_scalarIfEENS7_IdEENS7_IS3_EEb
    .private_segment_fixed_size: 0
    .sgpr_count:     68
    .sgpr_spill_count: 0
    .symbol:         _ZN9rocsparseL12csrilu0_hashILj256ELj64ELj8EdEEviPKiS2_PT2_S2_PiS2_S5_S5_d21rocsparse_index_base_imNS_24const_host_device_scalarIfEENS7_IdEENS7_IS3_EEb.kd
    .uniform_work_group_size: 1
    .uses_dynamic_stack: false
    .vgpr_count:     30
    .vgpr_spill_count: 0
    .wavefront_size: 64
  - .agpr_count:     0
    .args:
      - .offset:         0
        .size:           4
        .value_kind:     by_value
      - .address_space:  global
        .offset:         8
        .size:           8
        .value_kind:     global_buffer
      - .address_space:  global
        .offset:         16
        .size:           8
        .value_kind:     global_buffer
      - .address_space:  global
        .offset:         24
        .size:           8
        .value_kind:     global_buffer
      - .address_space:  global
        .offset:         32
        .size:           8
        .value_kind:     global_buffer
      - .address_space:  global
        .offset:         40
        .size:           8
        .value_kind:     global_buffer
      - .address_space:  global
        .offset:         48
        .size:           8
        .value_kind:     global_buffer
      - .address_space:  global
        .offset:         56
        .size:           8
        .value_kind:     global_buffer
      - .address_space:  global
        .offset:         64
        .size:           8
        .value_kind:     global_buffer
      - .offset:         72
        .size:           8
        .value_kind:     by_value
      - .offset:         80
        .size:           4
        .value_kind:     by_value
      - .offset:         84
        .size:           4
        .value_kind:     by_value
      - .offset:         88
        .size:           8
        .value_kind:     by_value
      - .offset:         96
        .size:           8
        .value_kind:     by_value
      - .offset:         104
        .size:           8
        .value_kind:     by_value
      - .offset:         112
        .size:           8
        .value_kind:     by_value
      - .offset:         120
        .size:           1
        .value_kind:     by_value
    .group_segment_fixed_size: 32768
    .kernarg_segment_align: 8
    .kernarg_segment_size: 124
    .language:       OpenCL C
    .language_version:
      - 2
      - 0
    .max_flat_workgroup_size: 256
    .name:           _ZN9rocsparseL12csrilu0_hashILj256ELj64ELj16EdEEviPKiS2_PT2_S2_PiS2_S5_S5_d21rocsparse_index_base_imNS_24const_host_device_scalarIfEENS7_IdEENS7_IS3_EEb
    .private_segment_fixed_size: 0
    .sgpr_count:     68
    .sgpr_spill_count: 0
    .symbol:         _ZN9rocsparseL12csrilu0_hashILj256ELj64ELj16EdEEviPKiS2_PT2_S2_PiS2_S5_S5_d21rocsparse_index_base_imNS_24const_host_device_scalarIfEENS7_IdEENS7_IS3_EEb.kd
    .uniform_work_group_size: 1
    .uses_dynamic_stack: false
    .vgpr_count:     30
    .vgpr_spill_count: 0
    .wavefront_size: 64
  - .agpr_count:     0
    .args:
      - .offset:         0
        .size:           4
        .value_kind:     by_value
      - .address_space:  global
        .offset:         8
        .size:           8
        .value_kind:     global_buffer
      - .address_space:  global
        .offset:         16
        .size:           8
        .value_kind:     global_buffer
      - .address_space:  global
        .offset:         24
        .size:           8
        .value_kind:     global_buffer
      - .address_space:  global
        .offset:         32
        .size:           8
        .value_kind:     global_buffer
      - .address_space:  global
        .offset:         40
        .size:           8
        .value_kind:     global_buffer
      - .address_space:  global
        .offset:         48
        .size:           8
        .value_kind:     global_buffer
      - .address_space:  global
        .offset:         56
        .size:           8
        .value_kind:     global_buffer
      - .address_space:  global
        .offset:         64
        .size:           8
        .value_kind:     global_buffer
      - .offset:         72
        .size:           8
        .value_kind:     by_value
      - .offset:         80
        .size:           4
        .value_kind:     by_value
      - .offset:         84
        .size:           4
        .value_kind:     by_value
      - .offset:         88
        .size:           8
        .value_kind:     by_value
      - .offset:         96
        .size:           8
        .value_kind:     by_value
      - .offset:         104
        .size:           8
        .value_kind:     by_value
      - .offset:         112
        .size:           8
        .value_kind:     by_value
      - .offset:         120
        .size:           1
        .value_kind:     by_value
    .group_segment_fixed_size: 0
    .kernarg_segment_align: 8
    .kernarg_segment_size: 124
    .language:       OpenCL C
    .language_version:
      - 2
      - 0
    .max_flat_workgroup_size: 256
    .name:           _ZN9rocsparseL17csrilu0_binsearchILj256ELj64ELb0EdEEviPKiS2_PT2_S2_PiS2_S5_S5_d21rocsparse_index_base_imNS_24const_host_device_scalarIfEENS7_IdEENS7_IS3_EEb
    .private_segment_fixed_size: 0
    .sgpr_count:     44
    .sgpr_spill_count: 0
    .symbol:         _ZN9rocsparseL17csrilu0_binsearchILj256ELj64ELb0EdEEviPKiS2_PT2_S2_PiS2_S5_S5_d21rocsparse_index_base_imNS_24const_host_device_scalarIfEENS7_IdEENS7_IS3_EEb.kd
    .uniform_work_group_size: 1
    .uses_dynamic_stack: false
    .vgpr_count:     30
    .vgpr_spill_count: 0
    .wavefront_size: 64
  - .agpr_count:     0
    .args:
      - .offset:         0
        .size:           4
        .value_kind:     by_value
      - .address_space:  global
        .offset:         8
        .size:           8
        .value_kind:     global_buffer
      - .address_space:  global
        .offset:         16
        .size:           8
        .value_kind:     global_buffer
      - .address_space:  global
        .offset:         24
        .size:           8
        .value_kind:     global_buffer
      - .address_space:  global
        .offset:         32
        .size:           8
        .value_kind:     global_buffer
      - .address_space:  global
        .offset:         40
        .size:           8
        .value_kind:     global_buffer
      - .address_space:  global
        .offset:         48
        .size:           8
        .value_kind:     global_buffer
      - .address_space:  global
        .offset:         56
        .size:           8
        .value_kind:     global_buffer
      - .address_space:  global
        .offset:         64
        .size:           8
        .value_kind:     global_buffer
      - .offset:         72
        .size:           8
        .value_kind:     by_value
      - .offset:         80
        .size:           4
        .value_kind:     by_value
      - .offset:         84
        .size:           4
        .value_kind:     by_value
      - .offset:         88
        .size:           8
        .value_kind:     by_value
      - .offset:         96
        .size:           8
        .value_kind:     by_value
      - .offset:         104
        .size:           8
        .value_kind:     by_value
      - .offset:         112
        .size:           8
        .value_kind:     by_value
      - .offset:         120
        .size:           1
        .value_kind:     by_value
    .group_segment_fixed_size: 0
    .kernarg_segment_align: 8
    .kernarg_segment_size: 124
    .language:       OpenCL C
    .language_version:
      - 2
      - 0
    .max_flat_workgroup_size: 256
    .name:           _ZN9rocsparseL17csrilu0_binsearchILj256ELj64ELb1E21rocsparse_complex_numIfEEEviPKiS4_PT2_S4_PiS4_S7_S7_d21rocsparse_index_base_imNS_24const_host_device_scalarIfEENS9_IdEENS9_IS5_EEb
    .private_segment_fixed_size: 0
    .sgpr_count:     44
    .sgpr_spill_count: 0
    .symbol:         _ZN9rocsparseL17csrilu0_binsearchILj256ELj64ELb1E21rocsparse_complex_numIfEEEviPKiS4_PT2_S4_PiS4_S7_S7_d21rocsparse_index_base_imNS_24const_host_device_scalarIfEENS9_IdEENS9_IS5_EEb.kd
    .uniform_work_group_size: 1
    .uses_dynamic_stack: false
    .vgpr_count:     28
    .vgpr_spill_count: 0
    .wavefront_size: 64
  - .agpr_count:     0
    .args:
      - .offset:         0
        .size:           4
        .value_kind:     by_value
      - .address_space:  global
        .offset:         8
        .size:           8
        .value_kind:     global_buffer
      - .address_space:  global
        .offset:         16
        .size:           8
        .value_kind:     global_buffer
      - .address_space:  global
        .offset:         24
        .size:           8
        .value_kind:     global_buffer
      - .address_space:  global
        .offset:         32
        .size:           8
        .value_kind:     global_buffer
      - .address_space:  global
        .offset:         40
        .size:           8
        .value_kind:     global_buffer
      - .address_space:  global
        .offset:         48
        .size:           8
        .value_kind:     global_buffer
      - .address_space:  global
        .offset:         56
        .size:           8
        .value_kind:     global_buffer
      - .address_space:  global
        .offset:         64
        .size:           8
        .value_kind:     global_buffer
      - .offset:         72
        .size:           8
        .value_kind:     by_value
      - .offset:         80
        .size:           4
        .value_kind:     by_value
      - .offset:         84
        .size:           4
        .value_kind:     by_value
      - .offset:         88
        .size:           8
        .value_kind:     by_value
      - .offset:         96
        .size:           8
        .value_kind:     by_value
      - .offset:         104
        .size:           8
        .value_kind:     by_value
      - .offset:         112
        .size:           8
        .value_kind:     by_value
      - .offset:         120
        .size:           1
        .value_kind:     by_value
    .group_segment_fixed_size: 2048
    .kernarg_segment_align: 8
    .kernarg_segment_size: 124
    .language:       OpenCL C
    .language_version:
      - 2
      - 0
    .max_flat_workgroup_size: 256
    .name:           _ZN9rocsparseL12csrilu0_hashILj256ELj32ELj1E21rocsparse_complex_numIfEEEviPKiS4_PT2_S4_PiS4_S7_S7_d21rocsparse_index_base_imNS_24const_host_device_scalarIfEENS9_IdEENS9_IS5_EEb
    .private_segment_fixed_size: 0
    .sgpr_count:     68
    .sgpr_spill_count: 0
    .symbol:         _ZN9rocsparseL12csrilu0_hashILj256ELj32ELj1E21rocsparse_complex_numIfEEEviPKiS4_PT2_S4_PiS4_S7_S7_d21rocsparse_index_base_imNS_24const_host_device_scalarIfEENS9_IdEENS9_IS5_EEb.kd
    .uniform_work_group_size: 1
    .uses_dynamic_stack: false
    .vgpr_count:     26
    .vgpr_spill_count: 0
    .wavefront_size: 64
  - .agpr_count:     0
    .args:
      - .offset:         0
        .size:           4
        .value_kind:     by_value
      - .address_space:  global
        .offset:         8
        .size:           8
        .value_kind:     global_buffer
      - .address_space:  global
        .offset:         16
        .size:           8
        .value_kind:     global_buffer
      - .address_space:  global
        .offset:         24
        .size:           8
        .value_kind:     global_buffer
      - .address_space:  global
        .offset:         32
        .size:           8
        .value_kind:     global_buffer
      - .address_space:  global
        .offset:         40
        .size:           8
        .value_kind:     global_buffer
      - .address_space:  global
        .offset:         48
        .size:           8
        .value_kind:     global_buffer
      - .address_space:  global
        .offset:         56
        .size:           8
        .value_kind:     global_buffer
      - .address_space:  global
        .offset:         64
        .size:           8
        .value_kind:     global_buffer
      - .offset:         72
        .size:           8
        .value_kind:     by_value
      - .offset:         80
        .size:           4
        .value_kind:     by_value
      - .offset:         84
        .size:           4
        .value_kind:     by_value
      - .offset:         88
        .size:           8
        .value_kind:     by_value
      - .offset:         96
        .size:           8
        .value_kind:     by_value
      - .offset:         104
        .size:           8
        .value_kind:     by_value
      - .offset:         112
        .size:           8
        .value_kind:     by_value
      - .offset:         120
        .size:           1
        .value_kind:     by_value
    .group_segment_fixed_size: 4096
    .kernarg_segment_align: 8
    .kernarg_segment_size: 124
    .language:       OpenCL C
    .language_version:
      - 2
      - 0
    .max_flat_workgroup_size: 256
    .name:           _ZN9rocsparseL12csrilu0_hashILj256ELj32ELj2E21rocsparse_complex_numIfEEEviPKiS4_PT2_S4_PiS4_S7_S7_d21rocsparse_index_base_imNS_24const_host_device_scalarIfEENS9_IdEENS9_IS5_EEb
    .private_segment_fixed_size: 0
    .sgpr_count:     68
    .sgpr_spill_count: 0
    .symbol:         _ZN9rocsparseL12csrilu0_hashILj256ELj32ELj2E21rocsparse_complex_numIfEEEviPKiS4_PT2_S4_PiS4_S7_S7_d21rocsparse_index_base_imNS_24const_host_device_scalarIfEENS9_IdEENS9_IS5_EEb.kd
    .uniform_work_group_size: 1
    .uses_dynamic_stack: false
    .vgpr_count:     26
    .vgpr_spill_count: 0
    .wavefront_size: 64
  - .agpr_count:     0
    .args:
      - .offset:         0
        .size:           4
        .value_kind:     by_value
      - .address_space:  global
        .offset:         8
        .size:           8
        .value_kind:     global_buffer
      - .address_space:  global
        .offset:         16
        .size:           8
        .value_kind:     global_buffer
      - .address_space:  global
        .offset:         24
        .size:           8
        .value_kind:     global_buffer
      - .address_space:  global
        .offset:         32
        .size:           8
        .value_kind:     global_buffer
      - .address_space:  global
        .offset:         40
        .size:           8
        .value_kind:     global_buffer
      - .address_space:  global
        .offset:         48
        .size:           8
        .value_kind:     global_buffer
      - .address_space:  global
        .offset:         56
        .size:           8
        .value_kind:     global_buffer
      - .address_space:  global
        .offset:         64
        .size:           8
        .value_kind:     global_buffer
      - .offset:         72
        .size:           8
        .value_kind:     by_value
      - .offset:         80
        .size:           4
        .value_kind:     by_value
      - .offset:         84
        .size:           4
        .value_kind:     by_value
      - .offset:         88
        .size:           8
        .value_kind:     by_value
      - .offset:         96
        .size:           8
        .value_kind:     by_value
      - .offset:         104
        .size:           8
        .value_kind:     by_value
      - .offset:         112
        .size:           8
        .value_kind:     by_value
      - .offset:         120
        .size:           1
        .value_kind:     by_value
    .group_segment_fixed_size: 8192
    .kernarg_segment_align: 8
    .kernarg_segment_size: 124
    .language:       OpenCL C
    .language_version:
      - 2
      - 0
    .max_flat_workgroup_size: 256
    .name:           _ZN9rocsparseL12csrilu0_hashILj256ELj32ELj4E21rocsparse_complex_numIfEEEviPKiS4_PT2_S4_PiS4_S7_S7_d21rocsparse_index_base_imNS_24const_host_device_scalarIfEENS9_IdEENS9_IS5_EEb
    .private_segment_fixed_size: 0
    .sgpr_count:     69
    .sgpr_spill_count: 0
    .symbol:         _ZN9rocsparseL12csrilu0_hashILj256ELj32ELj4E21rocsparse_complex_numIfEEEviPKiS4_PT2_S4_PiS4_S7_S7_d21rocsparse_index_base_imNS_24const_host_device_scalarIfEENS9_IdEENS9_IS5_EEb.kd
    .uniform_work_group_size: 1
    .uses_dynamic_stack: false
    .vgpr_count:     26
    .vgpr_spill_count: 0
    .wavefront_size: 64
  - .agpr_count:     0
    .args:
      - .offset:         0
        .size:           4
        .value_kind:     by_value
      - .address_space:  global
        .offset:         8
        .size:           8
        .value_kind:     global_buffer
      - .address_space:  global
        .offset:         16
        .size:           8
        .value_kind:     global_buffer
      - .address_space:  global
        .offset:         24
        .size:           8
        .value_kind:     global_buffer
      - .address_space:  global
        .offset:         32
        .size:           8
        .value_kind:     global_buffer
      - .address_space:  global
        .offset:         40
        .size:           8
        .value_kind:     global_buffer
      - .address_space:  global
        .offset:         48
        .size:           8
        .value_kind:     global_buffer
      - .address_space:  global
        .offset:         56
        .size:           8
        .value_kind:     global_buffer
      - .address_space:  global
        .offset:         64
        .size:           8
        .value_kind:     global_buffer
      - .offset:         72
        .size:           8
        .value_kind:     by_value
      - .offset:         80
        .size:           4
        .value_kind:     by_value
      - .offset:         84
        .size:           4
        .value_kind:     by_value
      - .offset:         88
        .size:           8
        .value_kind:     by_value
      - .offset:         96
        .size:           8
        .value_kind:     by_value
      - .offset:         104
        .size:           8
        .value_kind:     by_value
      - .offset:         112
        .size:           8
        .value_kind:     by_value
      - .offset:         120
        .size:           1
        .value_kind:     by_value
    .group_segment_fixed_size: 16384
    .kernarg_segment_align: 8
    .kernarg_segment_size: 124
    .language:       OpenCL C
    .language_version:
      - 2
      - 0
    .max_flat_workgroup_size: 256
    .name:           _ZN9rocsparseL12csrilu0_hashILj256ELj32ELj8E21rocsparse_complex_numIfEEEviPKiS4_PT2_S4_PiS4_S7_S7_d21rocsparse_index_base_imNS_24const_host_device_scalarIfEENS9_IdEENS9_IS5_EEb
    .private_segment_fixed_size: 0
    .sgpr_count:     69
    .sgpr_spill_count: 0
    .symbol:         _ZN9rocsparseL12csrilu0_hashILj256ELj32ELj8E21rocsparse_complex_numIfEEEviPKiS4_PT2_S4_PiS4_S7_S7_d21rocsparse_index_base_imNS_24const_host_device_scalarIfEENS9_IdEENS9_IS5_EEb.kd
    .uniform_work_group_size: 1
    .uses_dynamic_stack: false
    .vgpr_count:     26
    .vgpr_spill_count: 0
    .wavefront_size: 64
  - .agpr_count:     0
    .args:
      - .offset:         0
        .size:           4
        .value_kind:     by_value
      - .address_space:  global
        .offset:         8
        .size:           8
        .value_kind:     global_buffer
      - .address_space:  global
        .offset:         16
        .size:           8
        .value_kind:     global_buffer
      - .address_space:  global
        .offset:         24
        .size:           8
        .value_kind:     global_buffer
      - .address_space:  global
        .offset:         32
        .size:           8
        .value_kind:     global_buffer
      - .address_space:  global
        .offset:         40
        .size:           8
        .value_kind:     global_buffer
      - .address_space:  global
        .offset:         48
        .size:           8
        .value_kind:     global_buffer
      - .address_space:  global
        .offset:         56
        .size:           8
        .value_kind:     global_buffer
      - .address_space:  global
        .offset:         64
        .size:           8
        .value_kind:     global_buffer
      - .offset:         72
        .size:           8
        .value_kind:     by_value
      - .offset:         80
        .size:           4
        .value_kind:     by_value
      - .offset:         84
        .size:           4
        .value_kind:     by_value
      - .offset:         88
        .size:           8
        .value_kind:     by_value
      - .offset:         96
        .size:           8
        .value_kind:     by_value
      - .offset:         104
        .size:           8
        .value_kind:     by_value
      - .offset:         112
        .size:           8
        .value_kind:     by_value
      - .offset:         120
        .size:           1
        .value_kind:     by_value
    .group_segment_fixed_size: 32768
    .kernarg_segment_align: 8
    .kernarg_segment_size: 124
    .language:       OpenCL C
    .language_version:
      - 2
      - 0
    .max_flat_workgroup_size: 256
    .name:           _ZN9rocsparseL12csrilu0_hashILj256ELj32ELj16E21rocsparse_complex_numIfEEEviPKiS4_PT2_S4_PiS4_S7_S7_d21rocsparse_index_base_imNS_24const_host_device_scalarIfEENS9_IdEENS9_IS5_EEb
    .private_segment_fixed_size: 0
    .sgpr_count:     69
    .sgpr_spill_count: 0
    .symbol:         _ZN9rocsparseL12csrilu0_hashILj256ELj32ELj16E21rocsparse_complex_numIfEEEviPKiS4_PT2_S4_PiS4_S7_S7_d21rocsparse_index_base_imNS_24const_host_device_scalarIfEENS9_IdEENS9_IS5_EEb.kd
    .uniform_work_group_size: 1
    .uses_dynamic_stack: false
    .vgpr_count:     26
    .vgpr_spill_count: 0
    .wavefront_size: 64
  - .agpr_count:     0
    .args:
      - .offset:         0
        .size:           4
        .value_kind:     by_value
      - .address_space:  global
        .offset:         8
        .size:           8
        .value_kind:     global_buffer
      - .address_space:  global
        .offset:         16
        .size:           8
        .value_kind:     global_buffer
      - .address_space:  global
        .offset:         24
        .size:           8
        .value_kind:     global_buffer
      - .address_space:  global
        .offset:         32
        .size:           8
        .value_kind:     global_buffer
      - .address_space:  global
        .offset:         40
        .size:           8
        .value_kind:     global_buffer
      - .address_space:  global
        .offset:         48
        .size:           8
        .value_kind:     global_buffer
      - .address_space:  global
        .offset:         56
        .size:           8
        .value_kind:     global_buffer
      - .address_space:  global
        .offset:         64
        .size:           8
        .value_kind:     global_buffer
      - .offset:         72
        .size:           8
        .value_kind:     by_value
      - .offset:         80
        .size:           4
        .value_kind:     by_value
      - .offset:         84
        .size:           4
        .value_kind:     by_value
      - .offset:         88
        .size:           8
        .value_kind:     by_value
      - .offset:         96
        .size:           8
        .value_kind:     by_value
      - .offset:         104
        .size:           8
        .value_kind:     by_value
      - .offset:         112
        .size:           8
        .value_kind:     by_value
      - .offset:         120
        .size:           1
        .value_kind:     by_value
    .group_segment_fixed_size: 0
    .kernarg_segment_align: 8
    .kernarg_segment_size: 124
    .language:       OpenCL C
    .language_version:
      - 2
      - 0
    .max_flat_workgroup_size: 256
    .name:           _ZN9rocsparseL17csrilu0_binsearchILj256ELj32ELb0E21rocsparse_complex_numIfEEEviPKiS4_PT2_S4_PiS4_S7_S7_d21rocsparse_index_base_imNS_24const_host_device_scalarIfEENS9_IdEENS9_IS5_EEb
    .private_segment_fixed_size: 0
    .sgpr_count:     44
    .sgpr_spill_count: 0
    .symbol:         _ZN9rocsparseL17csrilu0_binsearchILj256ELj32ELb0E21rocsparse_complex_numIfEEEviPKiS4_PT2_S4_PiS4_S7_S7_d21rocsparse_index_base_imNS_24const_host_device_scalarIfEENS9_IdEENS9_IS5_EEb.kd
    .uniform_work_group_size: 1
    .uses_dynamic_stack: false
    .vgpr_count:     28
    .vgpr_spill_count: 0
    .wavefront_size: 64
  - .agpr_count:     0
    .args:
      - .offset:         0
        .size:           4
        .value_kind:     by_value
      - .address_space:  global
        .offset:         8
        .size:           8
        .value_kind:     global_buffer
      - .address_space:  global
        .offset:         16
        .size:           8
        .value_kind:     global_buffer
      - .address_space:  global
        .offset:         24
        .size:           8
        .value_kind:     global_buffer
      - .address_space:  global
        .offset:         32
        .size:           8
        .value_kind:     global_buffer
      - .address_space:  global
        .offset:         40
        .size:           8
        .value_kind:     global_buffer
      - .address_space:  global
        .offset:         48
        .size:           8
        .value_kind:     global_buffer
      - .address_space:  global
        .offset:         56
        .size:           8
        .value_kind:     global_buffer
      - .address_space:  global
        .offset:         64
        .size:           8
        .value_kind:     global_buffer
      - .offset:         72
        .size:           8
        .value_kind:     by_value
      - .offset:         80
        .size:           4
        .value_kind:     by_value
      - .offset:         84
        .size:           4
        .value_kind:     by_value
      - .offset:         88
        .size:           8
        .value_kind:     by_value
      - .offset:         96
        .size:           8
        .value_kind:     by_value
      - .offset:         104
        .size:           8
        .value_kind:     by_value
      - .offset:         112
        .size:           8
        .value_kind:     by_value
      - .offset:         120
        .size:           1
        .value_kind:     by_value
    .group_segment_fixed_size: 2048
    .kernarg_segment_align: 8
    .kernarg_segment_size: 124
    .language:       OpenCL C
    .language_version:
      - 2
      - 0
    .max_flat_workgroup_size: 256
    .name:           _ZN9rocsparseL12csrilu0_hashILj256ELj64ELj1E21rocsparse_complex_numIfEEEviPKiS4_PT2_S4_PiS4_S7_S7_d21rocsparse_index_base_imNS_24const_host_device_scalarIfEENS9_IdEENS9_IS5_EEb
    .private_segment_fixed_size: 0
    .sgpr_count:     68
    .sgpr_spill_count: 0
    .symbol:         _ZN9rocsparseL12csrilu0_hashILj256ELj64ELj1E21rocsparse_complex_numIfEEEviPKiS4_PT2_S4_PiS4_S7_S7_d21rocsparse_index_base_imNS_24const_host_device_scalarIfEENS9_IdEENS9_IS5_EEb.kd
    .uniform_work_group_size: 1
    .uses_dynamic_stack: false
    .vgpr_count:     26
    .vgpr_spill_count: 0
    .wavefront_size: 64
  - .agpr_count:     0
    .args:
      - .offset:         0
        .size:           4
        .value_kind:     by_value
      - .address_space:  global
        .offset:         8
        .size:           8
        .value_kind:     global_buffer
      - .address_space:  global
        .offset:         16
        .size:           8
        .value_kind:     global_buffer
      - .address_space:  global
        .offset:         24
        .size:           8
        .value_kind:     global_buffer
      - .address_space:  global
        .offset:         32
        .size:           8
        .value_kind:     global_buffer
      - .address_space:  global
        .offset:         40
        .size:           8
        .value_kind:     global_buffer
      - .address_space:  global
        .offset:         48
        .size:           8
        .value_kind:     global_buffer
      - .address_space:  global
        .offset:         56
        .size:           8
        .value_kind:     global_buffer
      - .address_space:  global
        .offset:         64
        .size:           8
        .value_kind:     global_buffer
      - .offset:         72
        .size:           8
        .value_kind:     by_value
      - .offset:         80
        .size:           4
        .value_kind:     by_value
      - .offset:         84
        .size:           4
        .value_kind:     by_value
      - .offset:         88
        .size:           8
        .value_kind:     by_value
      - .offset:         96
        .size:           8
        .value_kind:     by_value
      - .offset:         104
        .size:           8
        .value_kind:     by_value
      - .offset:         112
        .size:           8
        .value_kind:     by_value
      - .offset:         120
        .size:           1
        .value_kind:     by_value
    .group_segment_fixed_size: 4096
    .kernarg_segment_align: 8
    .kernarg_segment_size: 124
    .language:       OpenCL C
    .language_version:
      - 2
      - 0
    .max_flat_workgroup_size: 256
    .name:           _ZN9rocsparseL12csrilu0_hashILj256ELj64ELj2E21rocsparse_complex_numIfEEEviPKiS4_PT2_S4_PiS4_S7_S7_d21rocsparse_index_base_imNS_24const_host_device_scalarIfEENS9_IdEENS9_IS5_EEb
    .private_segment_fixed_size: 0
    .sgpr_count:     69
    .sgpr_spill_count: 0
    .symbol:         _ZN9rocsparseL12csrilu0_hashILj256ELj64ELj2E21rocsparse_complex_numIfEEEviPKiS4_PT2_S4_PiS4_S7_S7_d21rocsparse_index_base_imNS_24const_host_device_scalarIfEENS9_IdEENS9_IS5_EEb.kd
    .uniform_work_group_size: 1
    .uses_dynamic_stack: false
    .vgpr_count:     26
    .vgpr_spill_count: 0
    .wavefront_size: 64
  - .agpr_count:     0
    .args:
      - .offset:         0
        .size:           4
        .value_kind:     by_value
      - .address_space:  global
        .offset:         8
        .size:           8
        .value_kind:     global_buffer
      - .address_space:  global
        .offset:         16
        .size:           8
        .value_kind:     global_buffer
      - .address_space:  global
        .offset:         24
        .size:           8
        .value_kind:     global_buffer
      - .address_space:  global
        .offset:         32
        .size:           8
        .value_kind:     global_buffer
      - .address_space:  global
        .offset:         40
        .size:           8
        .value_kind:     global_buffer
      - .address_space:  global
        .offset:         48
        .size:           8
        .value_kind:     global_buffer
      - .address_space:  global
        .offset:         56
        .size:           8
        .value_kind:     global_buffer
      - .address_space:  global
        .offset:         64
        .size:           8
        .value_kind:     global_buffer
      - .offset:         72
        .size:           8
        .value_kind:     by_value
      - .offset:         80
        .size:           4
        .value_kind:     by_value
      - .offset:         84
        .size:           4
        .value_kind:     by_value
      - .offset:         88
        .size:           8
        .value_kind:     by_value
      - .offset:         96
        .size:           8
        .value_kind:     by_value
      - .offset:         104
        .size:           8
        .value_kind:     by_value
      - .offset:         112
        .size:           8
        .value_kind:     by_value
      - .offset:         120
        .size:           1
        .value_kind:     by_value
    .group_segment_fixed_size: 8192
    .kernarg_segment_align: 8
    .kernarg_segment_size: 124
    .language:       OpenCL C
    .language_version:
      - 2
      - 0
    .max_flat_workgroup_size: 256
    .name:           _ZN9rocsparseL12csrilu0_hashILj256ELj64ELj4E21rocsparse_complex_numIfEEEviPKiS4_PT2_S4_PiS4_S7_S7_d21rocsparse_index_base_imNS_24const_host_device_scalarIfEENS9_IdEENS9_IS5_EEb
    .private_segment_fixed_size: 0
    .sgpr_count:     69
    .sgpr_spill_count: 0
    .symbol:         _ZN9rocsparseL12csrilu0_hashILj256ELj64ELj4E21rocsparse_complex_numIfEEEviPKiS4_PT2_S4_PiS4_S7_S7_d21rocsparse_index_base_imNS_24const_host_device_scalarIfEENS9_IdEENS9_IS5_EEb.kd
    .uniform_work_group_size: 1
    .uses_dynamic_stack: false
    .vgpr_count:     26
    .vgpr_spill_count: 0
    .wavefront_size: 64
  - .agpr_count:     0
    .args:
      - .offset:         0
        .size:           4
        .value_kind:     by_value
      - .address_space:  global
        .offset:         8
        .size:           8
        .value_kind:     global_buffer
      - .address_space:  global
        .offset:         16
        .size:           8
        .value_kind:     global_buffer
      - .address_space:  global
        .offset:         24
        .size:           8
        .value_kind:     global_buffer
      - .address_space:  global
        .offset:         32
        .size:           8
        .value_kind:     global_buffer
      - .address_space:  global
        .offset:         40
        .size:           8
        .value_kind:     global_buffer
      - .address_space:  global
        .offset:         48
        .size:           8
        .value_kind:     global_buffer
      - .address_space:  global
        .offset:         56
        .size:           8
        .value_kind:     global_buffer
      - .address_space:  global
        .offset:         64
        .size:           8
        .value_kind:     global_buffer
      - .offset:         72
        .size:           8
        .value_kind:     by_value
      - .offset:         80
        .size:           4
        .value_kind:     by_value
      - .offset:         84
        .size:           4
        .value_kind:     by_value
      - .offset:         88
        .size:           8
        .value_kind:     by_value
      - .offset:         96
        .size:           8
        .value_kind:     by_value
      - .offset:         104
        .size:           8
        .value_kind:     by_value
      - .offset:         112
        .size:           8
        .value_kind:     by_value
      - .offset:         120
        .size:           1
        .value_kind:     by_value
    .group_segment_fixed_size: 16384
    .kernarg_segment_align: 8
    .kernarg_segment_size: 124
    .language:       OpenCL C
    .language_version:
      - 2
      - 0
    .max_flat_workgroup_size: 256
    .name:           _ZN9rocsparseL12csrilu0_hashILj256ELj64ELj8E21rocsparse_complex_numIfEEEviPKiS4_PT2_S4_PiS4_S7_S7_d21rocsparse_index_base_imNS_24const_host_device_scalarIfEENS9_IdEENS9_IS5_EEb
    .private_segment_fixed_size: 0
    .sgpr_count:     69
    .sgpr_spill_count: 0
    .symbol:         _ZN9rocsparseL12csrilu0_hashILj256ELj64ELj8E21rocsparse_complex_numIfEEEviPKiS4_PT2_S4_PiS4_S7_S7_d21rocsparse_index_base_imNS_24const_host_device_scalarIfEENS9_IdEENS9_IS5_EEb.kd
    .uniform_work_group_size: 1
    .uses_dynamic_stack: false
    .vgpr_count:     26
    .vgpr_spill_count: 0
    .wavefront_size: 64
  - .agpr_count:     0
    .args:
      - .offset:         0
        .size:           4
        .value_kind:     by_value
      - .address_space:  global
        .offset:         8
        .size:           8
        .value_kind:     global_buffer
      - .address_space:  global
        .offset:         16
        .size:           8
        .value_kind:     global_buffer
      - .address_space:  global
        .offset:         24
        .size:           8
        .value_kind:     global_buffer
      - .address_space:  global
        .offset:         32
        .size:           8
        .value_kind:     global_buffer
      - .address_space:  global
        .offset:         40
        .size:           8
        .value_kind:     global_buffer
      - .address_space:  global
        .offset:         48
        .size:           8
        .value_kind:     global_buffer
      - .address_space:  global
        .offset:         56
        .size:           8
        .value_kind:     global_buffer
      - .address_space:  global
        .offset:         64
        .size:           8
        .value_kind:     global_buffer
      - .offset:         72
        .size:           8
        .value_kind:     by_value
      - .offset:         80
        .size:           4
        .value_kind:     by_value
      - .offset:         84
        .size:           4
        .value_kind:     by_value
      - .offset:         88
        .size:           8
        .value_kind:     by_value
      - .offset:         96
        .size:           8
        .value_kind:     by_value
      - .offset:         104
        .size:           8
        .value_kind:     by_value
      - .offset:         112
        .size:           8
        .value_kind:     by_value
      - .offset:         120
        .size:           1
        .value_kind:     by_value
    .group_segment_fixed_size: 32768
    .kernarg_segment_align: 8
    .kernarg_segment_size: 124
    .language:       OpenCL C
    .language_version:
      - 2
      - 0
    .max_flat_workgroup_size: 256
    .name:           _ZN9rocsparseL12csrilu0_hashILj256ELj64ELj16E21rocsparse_complex_numIfEEEviPKiS4_PT2_S4_PiS4_S7_S7_d21rocsparse_index_base_imNS_24const_host_device_scalarIfEENS9_IdEENS9_IS5_EEb
    .private_segment_fixed_size: 0
    .sgpr_count:     69
    .sgpr_spill_count: 0
    .symbol:         _ZN9rocsparseL12csrilu0_hashILj256ELj64ELj16E21rocsparse_complex_numIfEEEviPKiS4_PT2_S4_PiS4_S7_S7_d21rocsparse_index_base_imNS_24const_host_device_scalarIfEENS9_IdEENS9_IS5_EEb.kd
    .uniform_work_group_size: 1
    .uses_dynamic_stack: false
    .vgpr_count:     26
    .vgpr_spill_count: 0
    .wavefront_size: 64
  - .agpr_count:     0
    .args:
      - .offset:         0
        .size:           4
        .value_kind:     by_value
      - .address_space:  global
        .offset:         8
        .size:           8
        .value_kind:     global_buffer
      - .address_space:  global
        .offset:         16
        .size:           8
        .value_kind:     global_buffer
      - .address_space:  global
        .offset:         24
        .size:           8
        .value_kind:     global_buffer
      - .address_space:  global
        .offset:         32
        .size:           8
        .value_kind:     global_buffer
      - .address_space:  global
        .offset:         40
        .size:           8
        .value_kind:     global_buffer
      - .address_space:  global
        .offset:         48
        .size:           8
        .value_kind:     global_buffer
      - .address_space:  global
        .offset:         56
        .size:           8
        .value_kind:     global_buffer
      - .address_space:  global
        .offset:         64
        .size:           8
        .value_kind:     global_buffer
      - .offset:         72
        .size:           8
        .value_kind:     by_value
      - .offset:         80
        .size:           4
        .value_kind:     by_value
      - .offset:         84
        .size:           4
        .value_kind:     by_value
      - .offset:         88
        .size:           8
        .value_kind:     by_value
      - .offset:         96
        .size:           8
        .value_kind:     by_value
      - .offset:         104
        .size:           8
        .value_kind:     by_value
      - .offset:         112
        .size:           8
        .value_kind:     by_value
      - .offset:         120
        .size:           1
        .value_kind:     by_value
    .group_segment_fixed_size: 0
    .kernarg_segment_align: 8
    .kernarg_segment_size: 124
    .language:       OpenCL C
    .language_version:
      - 2
      - 0
    .max_flat_workgroup_size: 256
    .name:           _ZN9rocsparseL17csrilu0_binsearchILj256ELj64ELb0E21rocsparse_complex_numIfEEEviPKiS4_PT2_S4_PiS4_S7_S7_d21rocsparse_index_base_imNS_24const_host_device_scalarIfEENS9_IdEENS9_IS5_EEb
    .private_segment_fixed_size: 0
    .sgpr_count:     44
    .sgpr_spill_count: 0
    .symbol:         _ZN9rocsparseL17csrilu0_binsearchILj256ELj64ELb0E21rocsparse_complex_numIfEEEviPKiS4_PT2_S4_PiS4_S7_S7_d21rocsparse_index_base_imNS_24const_host_device_scalarIfEENS9_IdEENS9_IS5_EEb.kd
    .uniform_work_group_size: 1
    .uses_dynamic_stack: false
    .vgpr_count:     28
    .vgpr_spill_count: 0
    .wavefront_size: 64
  - .agpr_count:     0
    .args:
      - .offset:         0
        .size:           4
        .value_kind:     by_value
      - .address_space:  global
        .offset:         8
        .size:           8
        .value_kind:     global_buffer
      - .address_space:  global
        .offset:         16
        .size:           8
        .value_kind:     global_buffer
      - .address_space:  global
        .offset:         24
        .size:           8
        .value_kind:     global_buffer
      - .address_space:  global
        .offset:         32
        .size:           8
        .value_kind:     global_buffer
      - .address_space:  global
        .offset:         40
        .size:           8
        .value_kind:     global_buffer
      - .address_space:  global
        .offset:         48
        .size:           8
        .value_kind:     global_buffer
      - .address_space:  global
        .offset:         56
        .size:           8
        .value_kind:     global_buffer
      - .address_space:  global
        .offset:         64
        .size:           8
        .value_kind:     global_buffer
      - .offset:         72
        .size:           8
        .value_kind:     by_value
      - .offset:         80
        .size:           4
        .value_kind:     by_value
      - .offset:         84
        .size:           4
        .value_kind:     by_value
      - .offset:         88
        .size:           8
        .value_kind:     by_value
      - .offset:         96
        .size:           8
        .value_kind:     by_value
      - .offset:         104
        .size:           8
        .value_kind:     by_value
      - .offset:         112
        .size:           16
        .value_kind:     by_value
      - .offset:         128
        .size:           1
        .value_kind:     by_value
    .group_segment_fixed_size: 0
    .kernarg_segment_align: 8
    .kernarg_segment_size: 132
    .language:       OpenCL C
    .language_version:
      - 2
      - 0
    .max_flat_workgroup_size: 256
    .name:           _ZN9rocsparseL17csrilu0_binsearchILj256ELj64ELb1E21rocsparse_complex_numIdEEEviPKiS4_PT2_S4_PiS4_S7_S7_d21rocsparse_index_base_imNS_24const_host_device_scalarIfEENS9_IdEENS9_IS5_EEb
    .private_segment_fixed_size: 16
    .sgpr_count:     44
    .sgpr_spill_count: 0
    .symbol:         _ZN9rocsparseL17csrilu0_binsearchILj256ELj64ELb1E21rocsparse_complex_numIdEEEviPKiS4_PT2_S4_PiS4_S7_S7_d21rocsparse_index_base_imNS_24const_host_device_scalarIfEENS9_IdEENS9_IS5_EEb.kd
    .uniform_work_group_size: 1
    .uses_dynamic_stack: false
    .vgpr_count:     38
    .vgpr_spill_count: 0
    .wavefront_size: 64
  - .agpr_count:     0
    .args:
      - .offset:         0
        .size:           4
        .value_kind:     by_value
      - .address_space:  global
        .offset:         8
        .size:           8
        .value_kind:     global_buffer
      - .address_space:  global
        .offset:         16
        .size:           8
        .value_kind:     global_buffer
      - .address_space:  global
        .offset:         24
        .size:           8
        .value_kind:     global_buffer
      - .address_space:  global
        .offset:         32
        .size:           8
        .value_kind:     global_buffer
      - .address_space:  global
        .offset:         40
        .size:           8
        .value_kind:     global_buffer
      - .address_space:  global
        .offset:         48
        .size:           8
        .value_kind:     global_buffer
      - .address_space:  global
        .offset:         56
        .size:           8
        .value_kind:     global_buffer
      - .address_space:  global
        .offset:         64
        .size:           8
        .value_kind:     global_buffer
      - .offset:         72
        .size:           8
        .value_kind:     by_value
      - .offset:         80
        .size:           4
        .value_kind:     by_value
      - .offset:         84
        .size:           4
        .value_kind:     by_value
      - .offset:         88
        .size:           8
        .value_kind:     by_value
      - .offset:         96
        .size:           8
        .value_kind:     by_value
      - .offset:         104
        .size:           8
        .value_kind:     by_value
      - .offset:         112
        .size:           16
        .value_kind:     by_value
      - .offset:         128
        .size:           1
        .value_kind:     by_value
    .group_segment_fixed_size: 2048
    .kernarg_segment_align: 8
    .kernarg_segment_size: 132
    .language:       OpenCL C
    .language_version:
      - 2
      - 0
    .max_flat_workgroup_size: 256
    .name:           _ZN9rocsparseL12csrilu0_hashILj256ELj32ELj1E21rocsparse_complex_numIdEEEviPKiS4_PT2_S4_PiS4_S7_S7_d21rocsparse_index_base_imNS_24const_host_device_scalarIfEENS9_IdEENS9_IS5_EEb
    .private_segment_fixed_size: 16
    .sgpr_count:     68
    .sgpr_spill_count: 0
    .symbol:         _ZN9rocsparseL12csrilu0_hashILj256ELj32ELj1E21rocsparse_complex_numIdEEEviPKiS4_PT2_S4_PiS4_S7_S7_d21rocsparse_index_base_imNS_24const_host_device_scalarIfEENS9_IdEENS9_IS5_EEb.kd
    .uniform_work_group_size: 1
    .uses_dynamic_stack: false
    .vgpr_count:     38
    .vgpr_spill_count: 0
    .wavefront_size: 64
  - .agpr_count:     0
    .args:
      - .offset:         0
        .size:           4
        .value_kind:     by_value
      - .address_space:  global
        .offset:         8
        .size:           8
        .value_kind:     global_buffer
      - .address_space:  global
        .offset:         16
        .size:           8
        .value_kind:     global_buffer
      - .address_space:  global
        .offset:         24
        .size:           8
        .value_kind:     global_buffer
      - .address_space:  global
        .offset:         32
        .size:           8
        .value_kind:     global_buffer
      - .address_space:  global
        .offset:         40
        .size:           8
        .value_kind:     global_buffer
      - .address_space:  global
        .offset:         48
        .size:           8
        .value_kind:     global_buffer
      - .address_space:  global
        .offset:         56
        .size:           8
        .value_kind:     global_buffer
      - .address_space:  global
        .offset:         64
        .size:           8
        .value_kind:     global_buffer
      - .offset:         72
        .size:           8
        .value_kind:     by_value
      - .offset:         80
        .size:           4
        .value_kind:     by_value
      - .offset:         84
        .size:           4
        .value_kind:     by_value
      - .offset:         88
        .size:           8
        .value_kind:     by_value
      - .offset:         96
        .size:           8
        .value_kind:     by_value
      - .offset:         104
        .size:           8
        .value_kind:     by_value
      - .offset:         112
        .size:           16
        .value_kind:     by_value
      - .offset:         128
        .size:           1
        .value_kind:     by_value
    .group_segment_fixed_size: 4096
    .kernarg_segment_align: 8
    .kernarg_segment_size: 132
    .language:       OpenCL C
    .language_version:
      - 2
      - 0
    .max_flat_workgroup_size: 256
    .name:           _ZN9rocsparseL12csrilu0_hashILj256ELj32ELj2E21rocsparse_complex_numIdEEEviPKiS4_PT2_S4_PiS4_S7_S7_d21rocsparse_index_base_imNS_24const_host_device_scalarIfEENS9_IdEENS9_IS5_EEb
    .private_segment_fixed_size: 16
    .sgpr_count:     68
    .sgpr_spill_count: 0
    .symbol:         _ZN9rocsparseL12csrilu0_hashILj256ELj32ELj2E21rocsparse_complex_numIdEEEviPKiS4_PT2_S4_PiS4_S7_S7_d21rocsparse_index_base_imNS_24const_host_device_scalarIfEENS9_IdEENS9_IS5_EEb.kd
    .uniform_work_group_size: 1
    .uses_dynamic_stack: false
    .vgpr_count:     38
    .vgpr_spill_count: 0
    .wavefront_size: 64
  - .agpr_count:     0
    .args:
      - .offset:         0
        .size:           4
        .value_kind:     by_value
      - .address_space:  global
        .offset:         8
        .size:           8
        .value_kind:     global_buffer
      - .address_space:  global
        .offset:         16
        .size:           8
        .value_kind:     global_buffer
      - .address_space:  global
        .offset:         24
        .size:           8
        .value_kind:     global_buffer
      - .address_space:  global
        .offset:         32
        .size:           8
        .value_kind:     global_buffer
      - .address_space:  global
        .offset:         40
        .size:           8
        .value_kind:     global_buffer
      - .address_space:  global
        .offset:         48
        .size:           8
        .value_kind:     global_buffer
      - .address_space:  global
        .offset:         56
        .size:           8
        .value_kind:     global_buffer
      - .address_space:  global
        .offset:         64
        .size:           8
        .value_kind:     global_buffer
      - .offset:         72
        .size:           8
        .value_kind:     by_value
      - .offset:         80
        .size:           4
        .value_kind:     by_value
      - .offset:         84
        .size:           4
        .value_kind:     by_value
      - .offset:         88
        .size:           8
        .value_kind:     by_value
      - .offset:         96
        .size:           8
        .value_kind:     by_value
      - .offset:         104
        .size:           8
        .value_kind:     by_value
      - .offset:         112
        .size:           16
        .value_kind:     by_value
      - .offset:         128
        .size:           1
        .value_kind:     by_value
    .group_segment_fixed_size: 8192
    .kernarg_segment_align: 8
    .kernarg_segment_size: 132
    .language:       OpenCL C
    .language_version:
      - 2
      - 0
    .max_flat_workgroup_size: 256
    .name:           _ZN9rocsparseL12csrilu0_hashILj256ELj32ELj4E21rocsparse_complex_numIdEEEviPKiS4_PT2_S4_PiS4_S7_S7_d21rocsparse_index_base_imNS_24const_host_device_scalarIfEENS9_IdEENS9_IS5_EEb
    .private_segment_fixed_size: 16
    .sgpr_count:     68
    .sgpr_spill_count: 0
    .symbol:         _ZN9rocsparseL12csrilu0_hashILj256ELj32ELj4E21rocsparse_complex_numIdEEEviPKiS4_PT2_S4_PiS4_S7_S7_d21rocsparse_index_base_imNS_24const_host_device_scalarIfEENS9_IdEENS9_IS5_EEb.kd
    .uniform_work_group_size: 1
    .uses_dynamic_stack: false
    .vgpr_count:     38
    .vgpr_spill_count: 0
    .wavefront_size: 64
  - .agpr_count:     0
    .args:
      - .offset:         0
        .size:           4
        .value_kind:     by_value
      - .address_space:  global
        .offset:         8
        .size:           8
        .value_kind:     global_buffer
      - .address_space:  global
        .offset:         16
        .size:           8
        .value_kind:     global_buffer
      - .address_space:  global
        .offset:         24
        .size:           8
        .value_kind:     global_buffer
      - .address_space:  global
        .offset:         32
        .size:           8
        .value_kind:     global_buffer
      - .address_space:  global
        .offset:         40
        .size:           8
        .value_kind:     global_buffer
      - .address_space:  global
        .offset:         48
        .size:           8
        .value_kind:     global_buffer
      - .address_space:  global
        .offset:         56
        .size:           8
        .value_kind:     global_buffer
      - .address_space:  global
        .offset:         64
        .size:           8
        .value_kind:     global_buffer
      - .offset:         72
        .size:           8
        .value_kind:     by_value
      - .offset:         80
        .size:           4
        .value_kind:     by_value
      - .offset:         84
        .size:           4
        .value_kind:     by_value
      - .offset:         88
        .size:           8
        .value_kind:     by_value
      - .offset:         96
        .size:           8
        .value_kind:     by_value
      - .offset:         104
        .size:           8
        .value_kind:     by_value
      - .offset:         112
        .size:           16
        .value_kind:     by_value
      - .offset:         128
        .size:           1
        .value_kind:     by_value
    .group_segment_fixed_size: 16384
    .kernarg_segment_align: 8
    .kernarg_segment_size: 132
    .language:       OpenCL C
    .language_version:
      - 2
      - 0
    .max_flat_workgroup_size: 256
    .name:           _ZN9rocsparseL12csrilu0_hashILj256ELj32ELj8E21rocsparse_complex_numIdEEEviPKiS4_PT2_S4_PiS4_S7_S7_d21rocsparse_index_base_imNS_24const_host_device_scalarIfEENS9_IdEENS9_IS5_EEb
    .private_segment_fixed_size: 16
    .sgpr_count:     68
    .sgpr_spill_count: 0
    .symbol:         _ZN9rocsparseL12csrilu0_hashILj256ELj32ELj8E21rocsparse_complex_numIdEEEviPKiS4_PT2_S4_PiS4_S7_S7_d21rocsparse_index_base_imNS_24const_host_device_scalarIfEENS9_IdEENS9_IS5_EEb.kd
    .uniform_work_group_size: 1
    .uses_dynamic_stack: false
    .vgpr_count:     38
    .vgpr_spill_count: 0
    .wavefront_size: 64
  - .agpr_count:     0
    .args:
      - .offset:         0
        .size:           4
        .value_kind:     by_value
      - .address_space:  global
        .offset:         8
        .size:           8
        .value_kind:     global_buffer
      - .address_space:  global
        .offset:         16
        .size:           8
        .value_kind:     global_buffer
      - .address_space:  global
        .offset:         24
        .size:           8
        .value_kind:     global_buffer
      - .address_space:  global
        .offset:         32
        .size:           8
        .value_kind:     global_buffer
      - .address_space:  global
        .offset:         40
        .size:           8
        .value_kind:     global_buffer
      - .address_space:  global
        .offset:         48
        .size:           8
        .value_kind:     global_buffer
      - .address_space:  global
        .offset:         56
        .size:           8
        .value_kind:     global_buffer
      - .address_space:  global
        .offset:         64
        .size:           8
        .value_kind:     global_buffer
      - .offset:         72
        .size:           8
        .value_kind:     by_value
      - .offset:         80
        .size:           4
        .value_kind:     by_value
      - .offset:         84
        .size:           4
        .value_kind:     by_value
      - .offset:         88
        .size:           8
        .value_kind:     by_value
      - .offset:         96
        .size:           8
        .value_kind:     by_value
      - .offset:         104
        .size:           8
        .value_kind:     by_value
      - .offset:         112
        .size:           16
        .value_kind:     by_value
      - .offset:         128
        .size:           1
        .value_kind:     by_value
    .group_segment_fixed_size: 32768
    .kernarg_segment_align: 8
    .kernarg_segment_size: 132
    .language:       OpenCL C
    .language_version:
      - 2
      - 0
    .max_flat_workgroup_size: 256
    .name:           _ZN9rocsparseL12csrilu0_hashILj256ELj32ELj16E21rocsparse_complex_numIdEEEviPKiS4_PT2_S4_PiS4_S7_S7_d21rocsparse_index_base_imNS_24const_host_device_scalarIfEENS9_IdEENS9_IS5_EEb
    .private_segment_fixed_size: 16
    .sgpr_count:     68
    .sgpr_spill_count: 0
    .symbol:         _ZN9rocsparseL12csrilu0_hashILj256ELj32ELj16E21rocsparse_complex_numIdEEEviPKiS4_PT2_S4_PiS4_S7_S7_d21rocsparse_index_base_imNS_24const_host_device_scalarIfEENS9_IdEENS9_IS5_EEb.kd
    .uniform_work_group_size: 1
    .uses_dynamic_stack: false
    .vgpr_count:     38
    .vgpr_spill_count: 0
    .wavefront_size: 64
  - .agpr_count:     0
    .args:
      - .offset:         0
        .size:           4
        .value_kind:     by_value
      - .address_space:  global
        .offset:         8
        .size:           8
        .value_kind:     global_buffer
      - .address_space:  global
        .offset:         16
        .size:           8
        .value_kind:     global_buffer
      - .address_space:  global
        .offset:         24
        .size:           8
        .value_kind:     global_buffer
      - .address_space:  global
        .offset:         32
        .size:           8
        .value_kind:     global_buffer
      - .address_space:  global
        .offset:         40
        .size:           8
        .value_kind:     global_buffer
      - .address_space:  global
        .offset:         48
        .size:           8
        .value_kind:     global_buffer
      - .address_space:  global
        .offset:         56
        .size:           8
        .value_kind:     global_buffer
      - .address_space:  global
        .offset:         64
        .size:           8
        .value_kind:     global_buffer
      - .offset:         72
        .size:           8
        .value_kind:     by_value
      - .offset:         80
        .size:           4
        .value_kind:     by_value
      - .offset:         84
        .size:           4
        .value_kind:     by_value
      - .offset:         88
        .size:           8
        .value_kind:     by_value
      - .offset:         96
        .size:           8
        .value_kind:     by_value
      - .offset:         104
        .size:           8
        .value_kind:     by_value
      - .offset:         112
        .size:           16
        .value_kind:     by_value
      - .offset:         128
        .size:           1
        .value_kind:     by_value
    .group_segment_fixed_size: 0
    .kernarg_segment_align: 8
    .kernarg_segment_size: 132
    .language:       OpenCL C
    .language_version:
      - 2
      - 0
    .max_flat_workgroup_size: 256
    .name:           _ZN9rocsparseL17csrilu0_binsearchILj256ELj32ELb0E21rocsparse_complex_numIdEEEviPKiS4_PT2_S4_PiS4_S7_S7_d21rocsparse_index_base_imNS_24const_host_device_scalarIfEENS9_IdEENS9_IS5_EEb
    .private_segment_fixed_size: 16
    .sgpr_count:     44
    .sgpr_spill_count: 0
    .symbol:         _ZN9rocsparseL17csrilu0_binsearchILj256ELj32ELb0E21rocsparse_complex_numIdEEEviPKiS4_PT2_S4_PiS4_S7_S7_d21rocsparse_index_base_imNS_24const_host_device_scalarIfEENS9_IdEENS9_IS5_EEb.kd
    .uniform_work_group_size: 1
    .uses_dynamic_stack: false
    .vgpr_count:     38
    .vgpr_spill_count: 0
    .wavefront_size: 64
  - .agpr_count:     0
    .args:
      - .offset:         0
        .size:           4
        .value_kind:     by_value
      - .address_space:  global
        .offset:         8
        .size:           8
        .value_kind:     global_buffer
      - .address_space:  global
        .offset:         16
        .size:           8
        .value_kind:     global_buffer
      - .address_space:  global
        .offset:         24
        .size:           8
        .value_kind:     global_buffer
      - .address_space:  global
        .offset:         32
        .size:           8
        .value_kind:     global_buffer
      - .address_space:  global
        .offset:         40
        .size:           8
        .value_kind:     global_buffer
      - .address_space:  global
        .offset:         48
        .size:           8
        .value_kind:     global_buffer
      - .address_space:  global
        .offset:         56
        .size:           8
        .value_kind:     global_buffer
      - .address_space:  global
        .offset:         64
        .size:           8
        .value_kind:     global_buffer
      - .offset:         72
        .size:           8
        .value_kind:     by_value
      - .offset:         80
        .size:           4
        .value_kind:     by_value
      - .offset:         84
        .size:           4
        .value_kind:     by_value
      - .offset:         88
        .size:           8
        .value_kind:     by_value
      - .offset:         96
        .size:           8
        .value_kind:     by_value
      - .offset:         104
        .size:           8
        .value_kind:     by_value
      - .offset:         112
        .size:           16
        .value_kind:     by_value
      - .offset:         128
        .size:           1
        .value_kind:     by_value
    .group_segment_fixed_size: 2048
    .kernarg_segment_align: 8
    .kernarg_segment_size: 132
    .language:       OpenCL C
    .language_version:
      - 2
      - 0
    .max_flat_workgroup_size: 256
    .name:           _ZN9rocsparseL12csrilu0_hashILj256ELj64ELj1E21rocsparse_complex_numIdEEEviPKiS4_PT2_S4_PiS4_S7_S7_d21rocsparse_index_base_imNS_24const_host_device_scalarIfEENS9_IdEENS9_IS5_EEb
    .private_segment_fixed_size: 16
    .sgpr_count:     68
    .sgpr_spill_count: 0
    .symbol:         _ZN9rocsparseL12csrilu0_hashILj256ELj64ELj1E21rocsparse_complex_numIdEEEviPKiS4_PT2_S4_PiS4_S7_S7_d21rocsparse_index_base_imNS_24const_host_device_scalarIfEENS9_IdEENS9_IS5_EEb.kd
    .uniform_work_group_size: 1
    .uses_dynamic_stack: false
    .vgpr_count:     38
    .vgpr_spill_count: 0
    .wavefront_size: 64
  - .agpr_count:     0
    .args:
      - .offset:         0
        .size:           4
        .value_kind:     by_value
      - .address_space:  global
        .offset:         8
        .size:           8
        .value_kind:     global_buffer
      - .address_space:  global
        .offset:         16
        .size:           8
        .value_kind:     global_buffer
      - .address_space:  global
        .offset:         24
        .size:           8
        .value_kind:     global_buffer
      - .address_space:  global
        .offset:         32
        .size:           8
        .value_kind:     global_buffer
      - .address_space:  global
        .offset:         40
        .size:           8
        .value_kind:     global_buffer
      - .address_space:  global
        .offset:         48
        .size:           8
        .value_kind:     global_buffer
      - .address_space:  global
        .offset:         56
        .size:           8
        .value_kind:     global_buffer
      - .address_space:  global
        .offset:         64
        .size:           8
        .value_kind:     global_buffer
      - .offset:         72
        .size:           8
        .value_kind:     by_value
      - .offset:         80
        .size:           4
        .value_kind:     by_value
      - .offset:         84
        .size:           4
        .value_kind:     by_value
      - .offset:         88
        .size:           8
        .value_kind:     by_value
      - .offset:         96
        .size:           8
        .value_kind:     by_value
      - .offset:         104
        .size:           8
        .value_kind:     by_value
      - .offset:         112
        .size:           16
        .value_kind:     by_value
      - .offset:         128
        .size:           1
        .value_kind:     by_value
    .group_segment_fixed_size: 4096
    .kernarg_segment_align: 8
    .kernarg_segment_size: 132
    .language:       OpenCL C
    .language_version:
      - 2
      - 0
    .max_flat_workgroup_size: 256
    .name:           _ZN9rocsparseL12csrilu0_hashILj256ELj64ELj2E21rocsparse_complex_numIdEEEviPKiS4_PT2_S4_PiS4_S7_S7_d21rocsparse_index_base_imNS_24const_host_device_scalarIfEENS9_IdEENS9_IS5_EEb
    .private_segment_fixed_size: 16
    .sgpr_count:     68
    .sgpr_spill_count: 0
    .symbol:         _ZN9rocsparseL12csrilu0_hashILj256ELj64ELj2E21rocsparse_complex_numIdEEEviPKiS4_PT2_S4_PiS4_S7_S7_d21rocsparse_index_base_imNS_24const_host_device_scalarIfEENS9_IdEENS9_IS5_EEb.kd
    .uniform_work_group_size: 1
    .uses_dynamic_stack: false
    .vgpr_count:     38
    .vgpr_spill_count: 0
    .wavefront_size: 64
  - .agpr_count:     0
    .args:
      - .offset:         0
        .size:           4
        .value_kind:     by_value
      - .address_space:  global
        .offset:         8
        .size:           8
        .value_kind:     global_buffer
      - .address_space:  global
        .offset:         16
        .size:           8
        .value_kind:     global_buffer
      - .address_space:  global
        .offset:         24
        .size:           8
        .value_kind:     global_buffer
      - .address_space:  global
        .offset:         32
        .size:           8
        .value_kind:     global_buffer
      - .address_space:  global
        .offset:         40
        .size:           8
        .value_kind:     global_buffer
      - .address_space:  global
        .offset:         48
        .size:           8
        .value_kind:     global_buffer
      - .address_space:  global
        .offset:         56
        .size:           8
        .value_kind:     global_buffer
      - .address_space:  global
        .offset:         64
        .size:           8
        .value_kind:     global_buffer
      - .offset:         72
        .size:           8
        .value_kind:     by_value
      - .offset:         80
        .size:           4
        .value_kind:     by_value
      - .offset:         84
        .size:           4
        .value_kind:     by_value
      - .offset:         88
        .size:           8
        .value_kind:     by_value
      - .offset:         96
        .size:           8
        .value_kind:     by_value
      - .offset:         104
        .size:           8
        .value_kind:     by_value
      - .offset:         112
        .size:           16
        .value_kind:     by_value
      - .offset:         128
        .size:           1
        .value_kind:     by_value
    .group_segment_fixed_size: 8192
    .kernarg_segment_align: 8
    .kernarg_segment_size: 132
    .language:       OpenCL C
    .language_version:
      - 2
      - 0
    .max_flat_workgroup_size: 256
    .name:           _ZN9rocsparseL12csrilu0_hashILj256ELj64ELj4E21rocsparse_complex_numIdEEEviPKiS4_PT2_S4_PiS4_S7_S7_d21rocsparse_index_base_imNS_24const_host_device_scalarIfEENS9_IdEENS9_IS5_EEb
    .private_segment_fixed_size: 16
    .sgpr_count:     68
    .sgpr_spill_count: 0
    .symbol:         _ZN9rocsparseL12csrilu0_hashILj256ELj64ELj4E21rocsparse_complex_numIdEEEviPKiS4_PT2_S4_PiS4_S7_S7_d21rocsparse_index_base_imNS_24const_host_device_scalarIfEENS9_IdEENS9_IS5_EEb.kd
    .uniform_work_group_size: 1
    .uses_dynamic_stack: false
    .vgpr_count:     38
    .vgpr_spill_count: 0
    .wavefront_size: 64
  - .agpr_count:     0
    .args:
      - .offset:         0
        .size:           4
        .value_kind:     by_value
      - .address_space:  global
        .offset:         8
        .size:           8
        .value_kind:     global_buffer
      - .address_space:  global
        .offset:         16
        .size:           8
        .value_kind:     global_buffer
      - .address_space:  global
        .offset:         24
        .size:           8
        .value_kind:     global_buffer
      - .address_space:  global
        .offset:         32
        .size:           8
        .value_kind:     global_buffer
      - .address_space:  global
        .offset:         40
        .size:           8
        .value_kind:     global_buffer
      - .address_space:  global
        .offset:         48
        .size:           8
        .value_kind:     global_buffer
      - .address_space:  global
        .offset:         56
        .size:           8
        .value_kind:     global_buffer
      - .address_space:  global
        .offset:         64
        .size:           8
        .value_kind:     global_buffer
      - .offset:         72
        .size:           8
        .value_kind:     by_value
      - .offset:         80
        .size:           4
        .value_kind:     by_value
      - .offset:         84
        .size:           4
        .value_kind:     by_value
      - .offset:         88
        .size:           8
        .value_kind:     by_value
      - .offset:         96
        .size:           8
        .value_kind:     by_value
      - .offset:         104
        .size:           8
        .value_kind:     by_value
      - .offset:         112
        .size:           16
        .value_kind:     by_value
      - .offset:         128
        .size:           1
        .value_kind:     by_value
    .group_segment_fixed_size: 16384
    .kernarg_segment_align: 8
    .kernarg_segment_size: 132
    .language:       OpenCL C
    .language_version:
      - 2
      - 0
    .max_flat_workgroup_size: 256
    .name:           _ZN9rocsparseL12csrilu0_hashILj256ELj64ELj8E21rocsparse_complex_numIdEEEviPKiS4_PT2_S4_PiS4_S7_S7_d21rocsparse_index_base_imNS_24const_host_device_scalarIfEENS9_IdEENS9_IS5_EEb
    .private_segment_fixed_size: 16
    .sgpr_count:     68
    .sgpr_spill_count: 0
    .symbol:         _ZN9rocsparseL12csrilu0_hashILj256ELj64ELj8E21rocsparse_complex_numIdEEEviPKiS4_PT2_S4_PiS4_S7_S7_d21rocsparse_index_base_imNS_24const_host_device_scalarIfEENS9_IdEENS9_IS5_EEb.kd
    .uniform_work_group_size: 1
    .uses_dynamic_stack: false
    .vgpr_count:     38
    .vgpr_spill_count: 0
    .wavefront_size: 64
  - .agpr_count:     0
    .args:
      - .offset:         0
        .size:           4
        .value_kind:     by_value
      - .address_space:  global
        .offset:         8
        .size:           8
        .value_kind:     global_buffer
      - .address_space:  global
        .offset:         16
        .size:           8
        .value_kind:     global_buffer
      - .address_space:  global
        .offset:         24
        .size:           8
        .value_kind:     global_buffer
      - .address_space:  global
        .offset:         32
        .size:           8
        .value_kind:     global_buffer
      - .address_space:  global
        .offset:         40
        .size:           8
        .value_kind:     global_buffer
      - .address_space:  global
        .offset:         48
        .size:           8
        .value_kind:     global_buffer
      - .address_space:  global
        .offset:         56
        .size:           8
        .value_kind:     global_buffer
      - .address_space:  global
        .offset:         64
        .size:           8
        .value_kind:     global_buffer
      - .offset:         72
        .size:           8
        .value_kind:     by_value
      - .offset:         80
        .size:           4
        .value_kind:     by_value
      - .offset:         84
        .size:           4
        .value_kind:     by_value
      - .offset:         88
        .size:           8
        .value_kind:     by_value
      - .offset:         96
        .size:           8
        .value_kind:     by_value
      - .offset:         104
        .size:           8
        .value_kind:     by_value
      - .offset:         112
        .size:           16
        .value_kind:     by_value
      - .offset:         128
        .size:           1
        .value_kind:     by_value
    .group_segment_fixed_size: 32768
    .kernarg_segment_align: 8
    .kernarg_segment_size: 132
    .language:       OpenCL C
    .language_version:
      - 2
      - 0
    .max_flat_workgroup_size: 256
    .name:           _ZN9rocsparseL12csrilu0_hashILj256ELj64ELj16E21rocsparse_complex_numIdEEEviPKiS4_PT2_S4_PiS4_S7_S7_d21rocsparse_index_base_imNS_24const_host_device_scalarIfEENS9_IdEENS9_IS5_EEb
    .private_segment_fixed_size: 16
    .sgpr_count:     68
    .sgpr_spill_count: 0
    .symbol:         _ZN9rocsparseL12csrilu0_hashILj256ELj64ELj16E21rocsparse_complex_numIdEEEviPKiS4_PT2_S4_PiS4_S7_S7_d21rocsparse_index_base_imNS_24const_host_device_scalarIfEENS9_IdEENS9_IS5_EEb.kd
    .uniform_work_group_size: 1
    .uses_dynamic_stack: false
    .vgpr_count:     38
    .vgpr_spill_count: 0
    .wavefront_size: 64
  - .agpr_count:     0
    .args:
      - .offset:         0
        .size:           4
        .value_kind:     by_value
      - .address_space:  global
        .offset:         8
        .size:           8
        .value_kind:     global_buffer
      - .address_space:  global
        .offset:         16
        .size:           8
        .value_kind:     global_buffer
      - .address_space:  global
        .offset:         24
        .size:           8
        .value_kind:     global_buffer
      - .address_space:  global
        .offset:         32
        .size:           8
        .value_kind:     global_buffer
      - .address_space:  global
        .offset:         40
        .size:           8
        .value_kind:     global_buffer
      - .address_space:  global
        .offset:         48
        .size:           8
        .value_kind:     global_buffer
      - .address_space:  global
        .offset:         56
        .size:           8
        .value_kind:     global_buffer
      - .address_space:  global
        .offset:         64
        .size:           8
        .value_kind:     global_buffer
      - .offset:         72
        .size:           8
        .value_kind:     by_value
      - .offset:         80
        .size:           4
        .value_kind:     by_value
      - .offset:         84
        .size:           4
        .value_kind:     by_value
      - .offset:         88
        .size:           8
        .value_kind:     by_value
      - .offset:         96
        .size:           8
        .value_kind:     by_value
      - .offset:         104
        .size:           8
        .value_kind:     by_value
      - .offset:         112
        .size:           16
        .value_kind:     by_value
      - .offset:         128
        .size:           1
        .value_kind:     by_value
    .group_segment_fixed_size: 0
    .kernarg_segment_align: 8
    .kernarg_segment_size: 132
    .language:       OpenCL C
    .language_version:
      - 2
      - 0
    .max_flat_workgroup_size: 256
    .name:           _ZN9rocsparseL17csrilu0_binsearchILj256ELj64ELb0E21rocsparse_complex_numIdEEEviPKiS4_PT2_S4_PiS4_S7_S7_d21rocsparse_index_base_imNS_24const_host_device_scalarIfEENS9_IdEENS9_IS5_EEb
    .private_segment_fixed_size: 16
    .sgpr_count:     44
    .sgpr_spill_count: 0
    .symbol:         _ZN9rocsparseL17csrilu0_binsearchILj256ELj64ELb0E21rocsparse_complex_numIdEEEviPKiS4_PT2_S4_PiS4_S7_S7_d21rocsparse_index_base_imNS_24const_host_device_scalarIfEENS9_IdEENS9_IS5_EEb.kd
    .uniform_work_group_size: 1
    .uses_dynamic_stack: false
    .vgpr_count:     38
    .vgpr_spill_count: 0
    .wavefront_size: 64
amdhsa.target:   amdgcn-amd-amdhsa--gfx950
amdhsa.version:
  - 1
  - 2
...

	.end_amdgpu_metadata
